;; amdgpu-corpus repo=ROCm/rocm-examples kind=compiled arch=gfx90a opt=O3
	.text
	.amdgcn_target "amdgcn-amd-amdhsa--gfx90a"
	.amdhsa_code_object_version 6
	.section	.text.unlikely.,"ax",@progbits
	.p2align	2                               ; -- Begin function __ockl_dm_alloc
	.type	__ockl_dm_alloc,@function
__ockl_dm_alloc:                        ; @__ockl_dm_alloc
; %bb.0:
	s_waitcnt vmcnt(0) expcnt(0) lgkmcnt(0)
	s_or_saveexec_b64 s[4:5], -1
	buffer_store_dword v63, off, s[0:3], s32 offset:8 ; 4-byte Folded Spill
	s_mov_b64 exec, s[4:5]
	v_accvgpr_write_b32 a15, v40            ;  Reload Reuse
	v_accvgpr_write_b32 a20, v41            ;  Reload Reuse
	;; [unrolled: 1-line block ×13, first 2 shown]
	buffer_store_dword v61, off, s[0:3], s32 offset:4 ; 4-byte Folded Spill
	buffer_store_dword v62, off, s[0:3], s32 ; 4-byte Folded Spill
	v_writelane_b32 v63, s34, 0
	v_writelane_b32 v63, s35, 1
	v_writelane_b32 v63, s36, 2
	v_writelane_b32 v63, s37, 3
	v_writelane_b32 v63, s38, 4
	v_writelane_b32 v63, s39, 5
	v_writelane_b32 v63, s40, 6
	v_writelane_b32 v63, s41, 7
	v_writelane_b32 v63, s42, 8
	v_writelane_b32 v63, s43, 9
	v_writelane_b32 v63, s44, 10
	v_writelane_b32 v63, s45, 11
	v_writelane_b32 v63, s46, 12
	v_writelane_b32 v63, s47, 13
	v_writelane_b32 v63, s48, 14
	v_writelane_b32 v63, s49, 15
	v_writelane_b32 v63, s50, 16
	v_writelane_b32 v63, s51, 17
	v_writelane_b32 v63, s52, 18
	v_writelane_b32 v63, s53, 19
	v_writelane_b32 v63, s54, 20
	v_writelane_b32 v63, s55, 21
	v_writelane_b32 v63, s56, 22
	v_writelane_b32 v63, s57, 23
	v_writelane_b32 v63, s58, 24
	v_writelane_b32 v63, s59, 25
	v_writelane_b32 v63, s60, 26
	v_writelane_b32 v63, s61, 27
	v_writelane_b32 v63, s62, 28
	v_writelane_b32 v63, s63, 29
	v_writelane_b32 v63, s64, 30
	v_writelane_b32 v63, s65, 31
	v_writelane_b32 v63, s66, 32
	v_writelane_b32 v63, s67, 33
	v_writelane_b32 v63, s68, 34
	v_writelane_b32 v63, s69, 35
	v_writelane_b32 v63, s70, 36
	v_writelane_b32 v63, s71, 37
	v_writelane_b32 v63, s72, 38
	v_writelane_b32 v63, s73, 39
	v_writelane_b32 v63, s74, 40
	v_writelane_b32 v63, s75, 41
	v_writelane_b32 v63, s76, 42
	v_writelane_b32 v63, s77, 43
	v_writelane_b32 v63, s78, 44
	v_writelane_b32 v63, s79, 45
	v_writelane_b32 v63, s80, 46
	v_writelane_b32 v63, s81, 47
	v_writelane_b32 v63, s82, 48
	v_writelane_b32 v63, s83, 49
	v_writelane_b32 v63, s84, 50
	v_writelane_b32 v63, s85, 51
	v_writelane_b32 v63, s86, 52
	v_writelane_b32 v63, s87, 53
	v_writelane_b32 v63, s88, 54
	v_writelane_b32 v63, s89, 55
	v_writelane_b32 v63, s90, 56
	v_writelane_b32 v63, s91, 57
	v_writelane_b32 v63, s92, 58
	v_writelane_b32 v63, s93, 59
	v_writelane_b32 v63, s94, 60
	v_writelane_b32 v63, s95, 61
	v_writelane_b32 v63, s30, 62
	v_writelane_b32 v63, s31, 63
	v_mov_b32_e32 v3, v1
	v_mov_b32_e32 v2, v0
	v_cmp_ne_u64_e32 vcc, 0, v[2:3]
	v_pk_mov_b32 v[0:1], 0, 0
	s_and_saveexec_b64 s[24:25], vcc
	s_cbranch_execz .LBB0_688
; %bb.1:
	s_mov_b64 s[4:5], 0xc01
	v_cmp_gt_u64_e32 vcc, s[4:5], v[2:3]
	v_mbcnt_lo_u32_b32 v9, -1, 0
                                        ; implicit-def: $vgpr0_vgpr1
	s_and_saveexec_b64 s[4:5], vcc
	s_xor_b64 s[26:27], exec, s[4:5]
	s_cbranch_execz .LBB0_655
; %bb.2:
	s_load_dwordx2 s[28:29], s[8:9], 0x60
	v_max_u32_e32 v1, 16, v2
	v_ffbh_u32_e32 v2, v1
	s_brev_b32 s4, 1
	v_lshrrev_b32_e64 v3, v2, s4
	s_waitcnt lgkmcnt(0)
	s_add_u32 s30, s28, 0x2800
	s_addc_u32 s31, s29, 0
	s_add_u32 s6, s28, 0x1000
	s_addc_u32 s7, s29, 0
	;; [unrolled: 2-line block ×3, first 2 shown]
	v_cmp_gt_u32_e32 vcc, v1, v3
	s_add_u32 s12, s28, 0x1800
	v_cndmask_b32_e64 v3, 0, 1, vcc
	v_lshrrev_b32_e64 v4, v2, -2.0
	v_lshlrev_b32_e32 v2, 1, v2
	s_addc_u32 s13, s29, 0
	v_sub_u32_e32 v2, v3, v2
	v_cmp_gt_u32_e32 vcc, v1, v4
	s_add_u32 s34, s28, 0x1a800
	v_mov_b32_e32 v8, 0
	v_addc_co_u32_e32 v2, vcc, 54, v2, vcc
	s_addc_u32 s35, s29, 0
	v_mov_b32_e32 v3, v8
	s_add_u32 s36, s28, 0x1a808
	v_lshlrev_b64 v[4:5], 7, v[2:3]
	s_addc_u32 s37, s29, 0
	v_mov_b32_e32 v1, s29
	v_add_co_u32_e32 v30, vcc, s28, v4
	v_addc_co_u32_e32 v31, vcc, v1, v5, vcc
	v_lshlrev_b64 v[6:7], 5, v[2:3]
	s_getpc_b64 s[4:5]
	s_add_u32 s4, s4, __unnamed_1@rel32@lo+12
	s_addc_u32 s5, s5, __unnamed_1@rel32@hi+20
	v_mov_b32_e32 v1, s5
	v_add_co_u32_e32 v28, vcc, s4, v6
	v_addc_co_u32_e32 v29, vcc, v7, v1, vcc
	s_getpc_b64 s[4:5]
	s_add_u32 s4, s4, __unnamed_1@rel32@lo+4
	s_addc_u32 s5, s5, __unnamed_1@rel32@hi+12
	v_mov_b32_e32 v1, s5
	v_add_co_u32_e32 v34, vcc, s4, v6
	v_addc_co_u32_e32 v35, vcc, v7, v1, vcc
	v_mov_b32_e32 v1, s7
	v_add_co_u32_e32 v36, vcc, s6, v4
	v_addc_co_u32_e32 v37, vcc, v1, v5, vcc
	;; [unrolled: 3-line block ×4, first 2 shown]
	s_getpc_b64 s[4:5]
	s_add_u32 s4, s4, __unnamed_1@rel32@lo+24
	s_addc_u32 s5, s5, __unnamed_1@rel32@hi+32
	s_mov_b64 s[38:39], 0xbf
	v_mov_b32_e32 v1, s5
	v_add_co_u32_e32 v54, vcc, s4, v6
	v_lshrrev_b64 v[4:5], v2, s[38:39]
	v_addc_co_u32_e32 v55, vcc, v7, v1, vcc
	v_and_b32_e32 v1, 1, v4
	s_getpc_b64 s[6:7]
	s_add_u32 s6, s6, __unnamed_1@rel32@lo+20
	s_addc_u32 s7, s7, __unnamed_1@rel32@hi+28
	v_cmp_eq_u32_e64 s[4:5], 1, v1
	v_mov_b32_e32 v1, s7
	v_add_co_u32_e32 v42, vcc, s6, v6
	s_getpc_b64 s[6:7]
	s_add_u32 s6, s6, __unnamed_1@rel32@lo+28
	s_addc_u32 s7, s7, __unnamed_1@rel32@hi+36
	s_add_u32 s70, s28, 0x900
	s_addc_u32 s71, s29, 0
	s_add_u32 s72, s28, 0x100
	s_addc_u32 s73, s29, 0
	s_add_u32 s74, s28, 0x1100
	v_addc_co_u32_e32 v43, vcc, v7, v1, vcc
	s_addc_u32 s75, s29, 0
	v_mov_b32_e32 v1, s7
	v_add_co_u32_e32 v4, vcc, s6, v6
	s_add_u32 s76, s28, 0x2100
	v_addc_co_u32_e32 v5, vcc, v7, v1, vcc
	s_addc_u32 s77, s29, 0
	v_accvgpr_write_b32 a13, v5
	s_add_u32 s78, s28, 0x1900
	v_mov_b32_e32 v13, 1
	v_accvgpr_write_b32 a12, v4
	s_mov_b32 s21, 0
	v_mov_b32_e32 v4, v8
	v_mov_b32_e32 v5, v8
	s_addc_u32 s79, s29, 0
	v_pk_mov_b32 v[0:1], 0, 0
	s_mov_b32 s80, 0xff00ff01
	s_movk_i32 s81, 0x100
	s_movk_i32 s82, 0x1800
	s_mov_b32 s83, 0x10100
	s_mov_b64 s[40:41], 0x752f
	s_movk_i32 s84, 0x300
	s_movk_i32 s85, 0x2ff
	v_mov_b32_e32 v40, 0x100
	s_mov_b64 s[42:43], 0x7530
	s_mov_b64 s[44:45], 0x4e1f
	s_mov_b32 s86, 0x200000
	v_mov_b32_e32 v62, 1
	s_mov_b64 s[46:47], 0x4e20
	v_mbcnt_hi_u32_b32 v32, -1, v9
	v_mov_b32_e32 v12, 3
	v_mov_b32_e32 v16, 0x1800
	;; [unrolled: 1-line block ×4, first 2 shown]
.LBB0_3:                                ; =>This Loop Header: Depth=1
                                        ;     Child Loop BB0_6 Depth 2
                                        ;       Child Loop BB0_11 Depth 3
                                        ;         Child Loop BB0_14 Depth 4
                                        ;         Child Loop BB0_43 Depth 4
                                        ;           Child Loop BB0_47 Depth 5
                                        ;           Child Loop BB0_75 Depth 5
                                        ;             Child Loop BB0_93 Depth 6
                                        ;             Child Loop BB0_101 Depth 6
	;; [unrolled: 1-line block ×29, first 2 shown]
                                        ;           Child Loop BB0_313 Depth 5
                                        ;           Child Loop BB0_316 Depth 5
	;; [unrolled: 1-line block ×7, first 2 shown]
                                        ;       Child Loop BB0_340 Depth 3
                                        ;         Child Loop BB0_344 Depth 4
                                        ;         Child Loop BB0_372 Depth 4
                                        ;           Child Loop BB0_390 Depth 5
                                        ;           Child Loop BB0_398 Depth 5
	;; [unrolled: 1-line block ×29, first 2 shown]
                                        ;         Child Loop BB0_610 Depth 4
                                        ;         Child Loop BB0_613 Depth 4
	;; [unrolled: 1-line block ×7, first 2 shown]
                                        ;       Child Loop BB0_636 Depth 3
	v_cmp_ne_u32_e32 vcc, 0, v27
	v_mov_b32_e32 v27, v8
	s_and_saveexec_b64 s[48:49], vcc
	s_cbranch_execz .LBB0_653
; %bb.4:                                ;   in Loop: Header=BB0_3 Depth=1
	v_readfirstlane_b32 s6, v2
	v_cmp_eq_u32_e32 vcc, s6, v2
	v_mov_b32_e32 v27, 1
	s_and_saveexec_b64 s[50:51], vcc
	s_cbranch_execz .LBB0_652
; %bb.5:                                ;   in Loop: Header=BB0_3 Depth=1
	v_mov_b32_e32 v27, 1
	v_mov_b32_e32 v9, 1
.LBB0_6:                                ;   Parent Loop BB0_3 Depth=1
                                        ; =>  This Loop Header: Depth=2
                                        ;       Child Loop BB0_11 Depth 3
                                        ;         Child Loop BB0_14 Depth 4
                                        ;         Child Loop BB0_43 Depth 4
                                        ;           Child Loop BB0_47 Depth 5
                                        ;           Child Loop BB0_75 Depth 5
                                        ;             Child Loop BB0_93 Depth 6
                                        ;             Child Loop BB0_101 Depth 6
	;; [unrolled: 1-line block ×29, first 2 shown]
                                        ;           Child Loop BB0_313 Depth 5
                                        ;           Child Loop BB0_316 Depth 5
	;; [unrolled: 1-line block ×7, first 2 shown]
                                        ;       Child Loop BB0_340 Depth 3
                                        ;         Child Loop BB0_344 Depth 4
                                        ;         Child Loop BB0_372 Depth 4
                                        ;           Child Loop BB0_390 Depth 5
                                        ;           Child Loop BB0_398 Depth 5
	;; [unrolled: 1-line block ×29, first 2 shown]
                                        ;         Child Loop BB0_610 Depth 4
                                        ;         Child Loop BB0_613 Depth 4
	;; [unrolled: 1-line block ×7, first 2 shown]
                                        ;       Child Loop BB0_636 Depth 3
	v_cmp_ne_u32_e32 vcc, 0, v9
	v_mov_b32_e32 v9, 0
	s_and_saveexec_b64 s[52:53], vcc
	s_cbranch_execz .LBB0_651
; %bb.7:                                ;   in Loop: Header=BB0_6 Depth=2
	v_mbcnt_lo_u32_b32 v7, exec_lo, 0
	v_mbcnt_hi_u32_b32 v7, exec_hi, v7
	v_mov_b32_e32 v6, 0
	v_cmp_eq_u32_e32 vcc, 0, v7
	s_and_saveexec_b64 s[6:7], vcc
	s_cbranch_execz .LBB0_9
; %bb.8:                                ;   in Loop: Header=BB0_6 Depth=2
	global_load_dword v6, v[30:31], off offset:2048 glc
.LBB0_9:                                ;   in Loop: Header=BB0_6 Depth=2
	s_or_b64 exec, exec, s[6:7]
	v_accvgpr_write_b32 a17, v1
	s_waitcnt vmcnt(0)
	v_readfirstlane_b32 s87, v6
	v_accvgpr_write_b32 a16, v0
	s_cmp_gt_u32 s87, 0x100ff
	s_cbranch_scc0 .LBB0_337
; %bb.10:                               ;   in Loop: Header=BB0_6 Depth=2
	v_mbcnt_lo_u32_b32 v0, exec_lo, 0
	v_mbcnt_hi_u32_b32 v33, exec_hi, v0
	v_accvgpr_write_b32 a14, v27
	s_bcnt1_i32_b64 s88, exec
	v_cmp_eq_u32_e64 s[6:7], 0, v33
	s_mov_b64 s[54:55], 0
	v_mov_b32_e32 v22, v2
                                        ; implicit-def: $vgpr6_vgpr7
.LBB0_11:                               ;   Parent Loop BB0_3 Depth=1
                                        ;     Parent Loop BB0_6 Depth=2
                                        ; =>    This Loop Header: Depth=3
                                        ;         Child Loop BB0_14 Depth 4
                                        ;         Child Loop BB0_43 Depth 4
                                        ;           Child Loop BB0_47 Depth 5
                                        ;           Child Loop BB0_75 Depth 5
                                        ;             Child Loop BB0_93 Depth 6
                                        ;             Child Loop BB0_101 Depth 6
	;; [unrolled: 1-line block ×29, first 2 shown]
                                        ;           Child Loop BB0_313 Depth 5
                                        ;           Child Loop BB0_316 Depth 5
	;; [unrolled: 1-line block ×7, first 2 shown]
	v_mov_b32_e32 v23, v8
	v_mov_b32_e32 v10, 0
	v_lshlrev_b64 v[0:1], 7, v[22:23]
	s_and_saveexec_b64 s[10:11], s[6:7]
	s_cbranch_execz .LBB0_13
; %bb.12:                               ;   in Loop: Header=BB0_11 Depth=3
	v_mov_b32_e32 v9, s29
	v_add_co_u32_e32 v10, vcc, s28, v0
	v_addc_co_u32_e32 v11, vcc, v9, v1, vcc
	global_load_dword v10, v[10:11], off glc
.LBB0_13:                               ;   in Loop: Header=BB0_11 Depth=3
	s_or_b64 exec, exec, s[10:11]
	v_lshlrev_b64 v[14:15], 5, v[22:23]
	s_getpc_b64 s[10:11]
	s_add_u32 s10, s10, __unnamed_1@rel32@lo+8
	s_addc_u32 s11, s11, __unnamed_1@rel32@hi+16
	v_mov_b32_e32 v9, s11
	v_add_co_u32_e32 v14, vcc, s10, v14
	v_addc_co_u32_e32 v15, vcc, v15, v9, vcc
	global_load_dword v9, v[14:15], off
	s_waitcnt vmcnt(1)
	v_readfirstlane_b32 s10, v10
	v_add_u32_e32 v10, s10, v33
	v_mul_hi_u32 v11, v10, s80
	s_mov_b32 s16, 0x10100
	v_mul_u32_u24_sdwa v11, v11, s16 dst_sel:DWORD dst_unused:UNUSED_PAD src0_sel:WORD_1 src1_sel:DWORD
	v_sub_u32_e32 v14, v10, v11
	v_mov_b32_e32 v10, s29
	v_add_co_u32_e32 v0, vcc, s28, v0
	v_addc_co_u32_e32 v1, vcc, v10, v1, vcc
.LBB0_14:                               ;   Parent Loop BB0_3 Depth=1
                                        ;     Parent Loop BB0_6 Depth=2
                                        ;       Parent Loop BB0_11 Depth=3
                                        ; =>      This Inner Loop Header: Depth=4
	v_cmp_gt_u32_e32 vcc, s81, v14
                                        ; implicit-def: $vgpr10_vgpr11
	s_and_saveexec_b64 s[10:11], vcc
	s_xor_b64 s[10:11], exec, s[10:11]
; %bb.15:                               ;   in Loop: Header=BB0_14 Depth=4
	v_pk_mov_b32 v[10:11], s[30:31], s[30:31] op_sel:[0,1]
	v_mad_u64_u32 v[10:11], s[12:13], v22, s82, v[10:11]
	v_mad_u64_u32 v[10:11], s[12:13], v14, 24, v[10:11]
; %bb.16:                               ;   in Loop: Header=BB0_14 Depth=4
	s_andn2_saveexec_b64 s[10:11], s[10:11]
	s_cbranch_execz .LBB0_18
; %bb.17:                               ;   in Loop: Header=BB0_14 Depth=4
	v_add_u32_e32 v10, 0xffffff00, v14
	v_lshrrev_b32_e32 v15, 8, v10
	v_pk_mov_b32 v[10:11], s[30:31], s[30:31] op_sel:[0,1]
	v_mad_u64_u32 v[10:11], s[12:13], v22, s82, v[10:11]
	v_mad_u64_u32 v[10:11], s[12:13], v15, 24, v[10:11]
	global_load_dwordx2 v[10:11], v[10:11], off glc
	v_and_b32_e32 v15, 0xff, v14
	s_waitcnt vmcnt(0)
	v_mad_u64_u32 v[10:11], s[12:13], v15, 24, v[10:11]
.LBB0_18:                               ;   in Loop: Header=BB0_14 Depth=4
	s_or_b64 exec, exec, s[10:11]
	global_load_dword v10, v[10:11], off offset:16 glc
	s_waitcnt vmcnt(0)
	v_cmp_lt_u32_e32 vcc, v10, v9
	s_cbranch_vccz .LBB0_20
; %bb.19:                               ;   in Loop: Header=BB0_14 Depth=4
	s_ff1_i32_b64 s10, vcc
	s_lshl_b32 s10, s10, 2
	v_mov_b32_e32 v10, s10
	ds_bpermute_b32 v10, v10, v14
	s_branch .LBB0_21
.LBB0_20:                               ;   in Loop: Header=BB0_14 Depth=4
	v_mov_b32_e32 v10, -1
.LBB0_21:                               ;   in Loop: Header=BB0_14 Depth=4
	s_waitcnt lgkmcnt(0)
	v_readfirstlane_b32 s14, v10
	s_cmp_eq_u32 s14, -1
	s_cselect_b64 s[10:11], -1, 0
	s_and_b64 vcc, exec, s[10:11]
	s_cbranch_vccnz .LBB0_24
; %bb.22:                               ;   in Loop: Header=BB0_14 Depth=4
	s_cmpk_lt_u32 s14, 0x100
	s_cbranch_scc0 .LBB0_25
; %bb.23:                               ;   in Loop: Header=BB0_14 Depth=4
	v_pk_mov_b32 v[10:11], s[30:31], s[30:31] op_sel:[0,1]
	v_mad_u64_u32 v[10:11], s[12:13], v22, s82, v[10:11]
	v_mad_u64_u32 v[10:11], s[12:13], s14, 24, v[10:11]
	s_mov_b64 s[12:13], 0
	s_branch .LBB0_26
.LBB0_24:                               ;   in Loop: Header=BB0_14 Depth=4
	s_mov_b64 s[12:13], -1
                                        ; implicit-def: $vgpr10_vgpr11
	s_branch .LBB0_29
.LBB0_25:                               ;   in Loop: Header=BB0_14 Depth=4
	s_mov_b64 s[12:13], -1
                                        ; implicit-def: $vgpr10_vgpr11
.LBB0_26:                               ;   in Loop: Header=BB0_14 Depth=4
	s_andn2_b64 vcc, exec, s[12:13]
	s_cbranch_vccnz .LBB0_28
; %bb.27:                               ;   in Loop: Header=BB0_14 Depth=4
	s_add_i32 s12, s14, 0xffffff00
	v_pk_mov_b32 v[10:11], s[30:31], s[30:31] op_sel:[0,1]
	s_lshr_b32 s15, s12, 8
	v_mad_u64_u32 v[10:11], s[12:13], v22, s82, v[10:11]
	v_mad_u64_u32 v[10:11], s[12:13], s15, 24, v[10:11]
	global_load_dwordx2 v[10:11], v[10:11], off glc
	s_and_b32 s12, s14, 0xff
	s_waitcnt vmcnt(0)
	v_mad_u64_u32 v[10:11], s[12:13], s12, 24, v[10:11]
.LBB0_28:                               ;   in Loop: Header=BB0_14 Depth=4
	s_mov_b64 s[12:13], 0
.LBB0_29:                               ;   in Loop: Header=BB0_14 Depth=4
	s_andn2_b64 vcc, exec, s[12:13]
	s_cbranch_vccnz .LBB0_33
; %bb.30:                               ;   in Loop: Header=BB0_14 Depth=4
	v_add_u32_e32 v10, s88, v14
	v_mul_hi_u32 v11, v10, s80
	v_mul_u32_u24_sdwa v11, v11, s83 dst_sel:DWORD dst_unused:UNUSED_PAD src0_sel:WORD_1 src1_sel:DWORD
	v_sub_u32_e32 v14, v10, v11
	s_and_saveexec_b64 s[12:13], s[6:7]
	s_cbranch_execz .LBB0_32
; %bb.31:                               ;   in Loop: Header=BB0_14 Depth=4
	global_store_dword v[0:1], v14, off
.LBB0_32:                               ;   in Loop: Header=BB0_14 Depth=4
	s_or_b64 exec, exec, s[12:13]
	s_sub_i32 s16, s16, s88
	v_pk_mov_b32 v[10:11], v[6:7], v[6:7] op_sel:[0,1]
.LBB0_33:                               ;   in Loop: Header=BB0_14 Depth=4
	s_andn2_b64 vcc, exec, s[10:11]
	s_cbranch_vccz .LBB0_35
; %bb.34:                               ;   in Loop: Header=BB0_14 Depth=4
	s_mov_b64 s[10:11], 0
	s_mov_b64 s[12:13], -1
                                        ; implicit-def: $sgpr16
                                        ; implicit-def: $vgpr14
	s_mov_b64 s[14:15], -1
	s_branch .LBB0_36
.LBB0_35:                               ;   in Loop: Header=BB0_14 Depth=4
	s_cmp_lt_i32 s16, 1
	s_mov_b64 s[12:13], 0
	s_cselect_b64 s[14:15], -1, 0
                                        ; implicit-def: $sgpr10_sgpr11
.LBB0_36:                               ;   in Loop: Header=BB0_14 Depth=4
	s_andn2_b64 vcc, exec, s[14:15]
	v_pk_mov_b32 v[6:7], v[10:11], v[10:11] op_sel:[0,1]
	s_cbranch_vccnz .LBB0_14
; %bb.37:                               ;   in Loop: Header=BB0_11 Depth=3
	s_andn2_b64 vcc, exec, s[12:13]
	v_pk_mov_b32 v[6:7], v[10:11], v[10:11] op_sel:[0,1]
	s_cbranch_vccz .LBB0_335
; %bb.38:                               ;   in Loop: Header=BB0_11 Depth=3
	v_cmp_eq_u32_e32 vcc, v22, v2
	v_cmp_gt_u32_e64 s[10:11], 14, v22
	s_and_b64 s[12:13], vcc, s[10:11]
	s_mov_b64 s[10:11], 0
	v_pk_mov_b32 v[6:7], 0, 0
	s_and_saveexec_b64 s[56:57], s[12:13]
	s_cbranch_execz .LBB0_334
; %bb.39:                               ;   in Loop: Header=BB0_11 Depth=3
	v_and_b32_e32 v0, -2, v22
	v_mov_b32_e32 v1, 0
	s_and_saveexec_b64 s[10:11], s[6:7]
	s_cbranch_execz .LBB0_41
; %bb.40:                               ;   in Loop: Header=BB0_11 Depth=3
	v_mov_b32_e32 v1, v8
	v_lshlrev_b64 v[6:7], 7, v[0:1]
	v_mov_b32_e32 v1, s71
	v_add_co_u32_e32 v6, vcc, s70, v6
	v_addc_co_u32_e32 v7, vcc, v1, v7, vcc
	global_load_dword v1, v[6:7], off glc
.LBB0_41:                               ;   in Loop: Header=BB0_11 Depth=3
	s_or_b64 exec, exec, s[10:11]
	s_waitcnt vmcnt(0)
	v_readfirstlane_b32 s90, v1
	v_add_u32_e32 v22, 2, v0
	s_cmp_gt_u32 s90, 0x100ff
	s_mov_b64 s[16:17], -1
	s_cbranch_scc1 .LBB0_333
; %bb.42:                               ;   in Loop: Header=BB0_11 Depth=3
	v_accvgpr_write_b32 a4, v34
	v_mbcnt_lo_u32_b32 v1, exec_lo, 0
	v_accvgpr_write_b32 a5, v35
	v_mbcnt_hi_u32_b32 v34, exec_hi, v1
	v_mov_b32_e32 v1, v8
	v_accvgpr_write_b32 a10, v42
	v_lshlrev_b64 v[6:7], 7, v[0:1]
	v_accvgpr_write_b32 a11, v43
	s_bcnt1_i32_b64 s89, exec
	v_mov_b32_e32 v9, s73
	v_add_co_u32_e32 v42, vcc, s72, v6
	v_addc_co_u32_e32 v43, vcc, v9, v7, vcc
	v_lshlrev_b64 v[10:11], 5, v[0:1]
	s_getpc_b64 s[12:13]
	s_add_u32 s12, s12, __unnamed_1@rel32@lo+76
	s_addc_u32 s13, s13, __unnamed_1@rel32@hi+84
	v_mov_b32_e32 v0, s13
	v_add_co_u32_e32 v44, vcc, s12, v10
	v_addc_co_u32_e32 v45, vcc, v11, v0, vcc
	s_getpc_b64 s[12:13]
	s_add_u32 s12, s12, __unnamed_1@rel32@lo+68
	s_addc_u32 s13, s13, __unnamed_1@rel32@hi+76
	v_mov_b32_e32 v0, s13
	v_add_co_u32_e32 v46, vcc, s12, v10
	v_addc_co_u32_e32 v47, vcc, v11, v0, vcc
	v_mov_b32_e32 v0, s71
	v_add_co_u32_e32 v56, vcc, s70, v6
	v_addc_co_u32_e32 v57, vcc, v0, v7, vcc
	;; [unrolled: 3-line block ×3, first 2 shown]
	v_mov_b32_e32 v0, s77
	v_add_co_u32_e32 v60, vcc, s76, v6
	v_accvgpr_write_b32 a8, v54
	v_addc_co_u32_e32 v61, vcc, v0, v7, vcc
	v_accvgpr_write_b32 a9, v55
	v_mov_b32_e32 v0, s79
	v_add_co_u32_e32 v54, vcc, s78, v6
	v_addc_co_u32_e32 v55, vcc, v0, v7, vcc
	s_getpc_b64 s[12:13]
	s_add_u32 s12, s12, __unnamed_1@rel32@lo+88
	s_addc_u32 s13, s13, __unnamed_1@rel32@hi+96
	v_mov_b32_e32 v1, s13
	v_add_co_u32_e32 v0, vcc, s12, v10
	v_lshrrev_b64 v[6:7], v22, s[38:39]
	v_addc_co_u32_e32 v1, vcc, v11, v1, vcc
	v_and_b32_e32 v6, 1, v6
	s_getpc_b64 s[14:15]
	s_add_u32 s14, s14, __unnamed_1@rel32@lo+84
	s_addc_u32 s15, s15, __unnamed_1@rel32@hi+92
	v_cmp_eq_u32_e64 s[12:13], 1, v6
	v_mov_b32_e32 v6, s15
	v_add_co_u32_e32 v52, vcc, s14, v10
	v_addc_co_u32_e32 v53, vcc, v11, v6, vcc
	s_getpc_b64 s[14:15]
	s_add_u32 s14, s14, __unnamed_1@rel32@lo+92
	s_addc_u32 s15, s15, __unnamed_1@rel32@hi+100
	v_mov_b32_e32 v6, s15
	v_add_co_u32_e32 v10, vcc, s14, v10
	v_addc_co_u32_e32 v11, vcc, v11, v6, vcc
	v_accvgpr_write_b32 a6, v48
	v_accvgpr_write_b32 a2, v28
	;; [unrolled: 1-line block ×5, first 2 shown]
	v_cmp_eq_u32_e64 s[10:11], 0, v34
	v_accvgpr_write_b32 a18, v10
	v_mov_b32_e32 v23, v8
	v_mov_b32_e32 v24, v8
	v_mov_b32_e32 v25, v8
                                        ; implicit-def: $agpr0_agpr1
.LBB0_43:                               ;   Parent Loop BB0_3 Depth=1
                                        ;     Parent Loop BB0_6 Depth=2
                                        ;       Parent Loop BB0_11 Depth=3
                                        ; =>      This Loop Header: Depth=4
                                        ;           Child Loop BB0_47 Depth 5
                                        ;           Child Loop BB0_75 Depth 5
                                        ;             Child Loop BB0_93 Depth 6
                                        ;             Child Loop BB0_101 Depth 6
	;; [unrolled: 1-line block ×29, first 2 shown]
                                        ;           Child Loop BB0_313 Depth 5
                                        ;           Child Loop BB0_316 Depth 5
	;; [unrolled: 1-line block ×7, first 2 shown]
	s_cmp_eq_u32 s90, 0
	s_mov_b64 s[14:15], -1
	s_cbranch_scc1 .LBB0_72
; %bb.44:                               ;   in Loop: Header=BB0_43 Depth=4
	v_mov_b32_e32 v6, 0
	s_and_saveexec_b64 s[16:17], s[10:11]
	s_cbranch_execz .LBB0_46
; %bb.45:                               ;   in Loop: Header=BB0_43 Depth=4
	global_load_dword v6, v[42:43], off glc
.LBB0_46:                               ;   in Loop: Header=BB0_43 Depth=4
	s_or_b64 exec, exec, s[16:17]
	global_load_dword v9, v[44:45], off
	v_cvt_f32_u32_e32 v7, s90
	s_waitcnt vmcnt(1)
	v_readfirstlane_b32 s16, v6
	v_add_u32_e32 v6, s16, v34
	s_sub_i32 s16, 0, s90
	v_rcp_iflag_f32_e32 v7, v7
	s_mov_b32 s20, s90
	v_mul_f32_e32 v7, 0x4f7ffffe, v7
	v_cvt_u32_f32_e32 v7, v7
	v_mul_lo_u32 v10, s16, v7
	v_mul_hi_u32 v10, v7, v10
	v_add_u32_e32 v14, v7, v10
	v_mul_hi_u32 v7, v6, v14
	v_mul_lo_u32 v7, v7, s90
	v_sub_u32_e32 v6, v6, v7
	v_subrev_u32_e32 v7, s90, v6
	v_cmp_le_u32_e32 vcc, s90, v6
	v_cndmask_b32_e32 v6, v6, v7, vcc
	v_subrev_u32_e32 v7, s90, v6
	v_cmp_le_u32_e32 vcc, s90, v6
	v_cndmask_b32_e32 v15, v6, v7, vcc
.LBB0_47:                               ;   Parent Loop BB0_3 Depth=1
                                        ;     Parent Loop BB0_6 Depth=2
                                        ;       Parent Loop BB0_11 Depth=3
                                        ;         Parent Loop BB0_43 Depth=4
                                        ; =>        This Inner Loop Header: Depth=5
	v_cmp_gt_u32_e32 vcc, s81, v15
                                        ; implicit-def: $vgpr6_vgpr7
	s_and_saveexec_b64 s[16:17], vcc
	s_xor_b64 s[16:17], exec, s[16:17]
; %bb.48:                               ;   in Loop: Header=BB0_47 Depth=5
	v_pk_mov_b32 v[6:7], s[30:31], s[30:31] op_sel:[0,1]
	v_mad_u64_u32 v[6:7], s[18:19], v22, s82, v[6:7]
	v_mad_u64_u32 v[6:7], s[18:19], v15, 24, v[6:7]
; %bb.49:                               ;   in Loop: Header=BB0_47 Depth=5
	s_andn2_saveexec_b64 s[16:17], s[16:17]
	s_cbranch_execz .LBB0_51
; %bb.50:                               ;   in Loop: Header=BB0_47 Depth=5
	v_add_u32_e32 v6, 0xffffff00, v15
	v_lshrrev_b32_e32 v10, 8, v6
	v_pk_mov_b32 v[6:7], s[30:31], s[30:31] op_sel:[0,1]
	v_mad_u64_u32 v[6:7], s[18:19], v22, s82, v[6:7]
	v_mad_u64_u32 v[6:7], s[18:19], v10, 24, v[6:7]
	global_load_dwordx2 v[6:7], v[6:7], off glc
	v_and_b32_e32 v10, 0xff, v15
	s_waitcnt vmcnt(0)
	v_mad_u64_u32 v[6:7], s[18:19], v10, 24, v[6:7]
.LBB0_51:                               ;   in Loop: Header=BB0_47 Depth=5
	s_or_b64 exec, exec, s[16:17]
	global_load_dword v6, v[6:7], off offset:16 glc
	s_waitcnt vmcnt(0)
	v_cmp_lt_u32_e32 vcc, v6, v9
	s_cbranch_vccz .LBB0_53
; %bb.52:                               ;   in Loop: Header=BB0_47 Depth=5
	s_ff1_i32_b64 s16, vcc
	s_lshl_b32 s16, s16, 2
	v_mov_b32_e32 v6, s16
	ds_bpermute_b32 v6, v6, v15
	s_branch .LBB0_54
.LBB0_53:                               ;   in Loop: Header=BB0_47 Depth=5
	v_mov_b32_e32 v6, -1
.LBB0_54:                               ;   in Loop: Header=BB0_47 Depth=5
	s_waitcnt lgkmcnt(0)
	v_readfirstlane_b32 s22, v6
	s_cmp_eq_u32 s22, -1
	s_cselect_b64 s[16:17], -1, 0
	s_and_b64 vcc, exec, s[16:17]
	s_cbranch_vccnz .LBB0_57
; %bb.55:                               ;   in Loop: Header=BB0_47 Depth=5
	s_cmpk_lt_u32 s22, 0x100
	s_cbranch_scc0 .LBB0_58
; %bb.56:                               ;   in Loop: Header=BB0_47 Depth=5
	v_pk_mov_b32 v[6:7], s[30:31], s[30:31] op_sel:[0,1]
	v_mad_u64_u32 v[6:7], s[18:19], v22, s82, v[6:7]
	v_mad_u64_u32 v[10:11], s[18:19], s22, 24, v[6:7]
	s_mov_b64 s[18:19], 0
	s_branch .LBB0_59
.LBB0_57:                               ;   in Loop: Header=BB0_47 Depth=5
	s_mov_b64 s[18:19], -1
                                        ; implicit-def: $vgpr10_vgpr11
	s_branch .LBB0_62
.LBB0_58:                               ;   in Loop: Header=BB0_47 Depth=5
	s_mov_b64 s[18:19], -1
                                        ; implicit-def: $vgpr10_vgpr11
.LBB0_59:                               ;   in Loop: Header=BB0_47 Depth=5
	s_andn2_b64 vcc, exec, s[18:19]
	s_cbranch_vccnz .LBB0_61
; %bb.60:                               ;   in Loop: Header=BB0_47 Depth=5
	s_add_i32 s18, s22, 0xffffff00
	v_pk_mov_b32 v[6:7], s[30:31], s[30:31] op_sel:[0,1]
	s_lshr_b32 s23, s18, 8
	v_mad_u64_u32 v[6:7], s[18:19], v22, s82, v[6:7]
	v_mad_u64_u32 v[6:7], s[18:19], s23, 24, v[6:7]
	global_load_dwordx2 v[6:7], v[6:7], off glc
	s_and_b32 s18, s22, 0xff
	s_waitcnt vmcnt(0)
	v_mad_u64_u32 v[10:11], s[18:19], s18, 24, v[6:7]
.LBB0_61:                               ;   in Loop: Header=BB0_47 Depth=5
	s_mov_b64 s[18:19], 0
.LBB0_62:                               ;   in Loop: Header=BB0_47 Depth=5
	s_andn2_b64 vcc, exec, s[18:19]
	s_cbranch_vccnz .LBB0_66
; %bb.63:                               ;   in Loop: Header=BB0_47 Depth=5
	v_add_u32_e32 v6, s89, v15
	v_mul_hi_u32 v7, v6, v14
	v_mul_lo_u32 v7, v7, s90
	v_sub_u32_e32 v6, v6, v7
	v_subrev_u32_e32 v7, s90, v6
	v_cmp_le_u32_e32 vcc, s90, v6
	v_cndmask_b32_e32 v6, v6, v7, vcc
	v_subrev_u32_e32 v7, s90, v6
	v_cmp_le_u32_e32 vcc, s90, v6
	v_cndmask_b32_e32 v15, v6, v7, vcc
	s_and_saveexec_b64 s[18:19], s[10:11]
	s_cbranch_execz .LBB0_65
; %bb.64:                               ;   in Loop: Header=BB0_47 Depth=5
	global_store_dword v[42:43], v15, off
.LBB0_65:                               ;   in Loop: Header=BB0_47 Depth=5
	s_or_b64 exec, exec, s[18:19]
	v_accvgpr_read_b32 v11, a1
	s_sub_i32 s20, s20, s89
	v_accvgpr_read_b32 v10, a0
.LBB0_66:                               ;   in Loop: Header=BB0_47 Depth=5
	s_andn2_b64 vcc, exec, s[16:17]
	s_cbranch_vccz .LBB0_68
; %bb.67:                               ;   in Loop: Header=BB0_47 Depth=5
	s_mov_b64 s[16:17], 0
	s_mov_b64 s[18:19], -1
                                        ; implicit-def: $sgpr20
                                        ; implicit-def: $vgpr15
	s_mov_b64 s[22:23], -1
	s_branch .LBB0_69
.LBB0_68:                               ;   in Loop: Header=BB0_47 Depth=5
	s_cmp_lt_i32 s20, 1
	s_mov_b64 s[18:19], 0
	s_cselect_b64 s[22:23], -1, 0
                                        ; implicit-def: $sgpr16_sgpr17
.LBB0_69:                               ;   in Loop: Header=BB0_47 Depth=5
	s_andn2_b64 vcc, exec, s[22:23]
	s_cbranch_vccz .LBB0_71
; %bb.70:                               ;   in Loop: Header=BB0_47 Depth=5
	v_accvgpr_write_b32 a0, v10
	v_accvgpr_write_b32 a1, v11
	s_branch .LBB0_47
.LBB0_71:                               ;   in Loop: Header=BB0_43 Depth=4
	v_accvgpr_write_b32 a0, v10
	s_xor_b64 s[18:19], s[18:19], -1
	v_accvgpr_write_b32 a1, v11
	s_branch .LBB0_73
.LBB0_72:                               ;   in Loop: Header=BB0_43 Depth=4
                                        ; implicit-def: $vgpr10_vgpr11
                                        ; implicit-def: $sgpr16_sgpr17
	s_mov_b64 s[18:19], -1
.LBB0_73:                               ;   in Loop: Header=BB0_43 Depth=4
	s_and_b64 vcc, exec, s[18:19]
	s_cbranch_vccz .LBB0_331
; %bb.74:                               ;   in Loop: Header=BB0_43 Depth=4
	v_mbcnt_lo_u32_b32 v6, exec_lo, 0
	v_mbcnt_hi_u32_b32 v6, exec_hi, v6
	v_cmp_eq_u32_e64 s[14:15], 0, v6
                                        ; implicit-def: $sgpr58_sgpr59
.LBB0_75:                               ;   Parent Loop BB0_3 Depth=1
                                        ;     Parent Loop BB0_6 Depth=2
                                        ;       Parent Loop BB0_11 Depth=3
                                        ;         Parent Loop BB0_43 Depth=4
                                        ; =>        This Loop Header: Depth=5
                                        ;             Child Loop BB0_93 Depth 6
                                        ;             Child Loop BB0_101 Depth 6
                                        ;             Child Loop BB0_107 Depth 6
                                        ;             Child Loop BB0_116 Depth 6
                                        ;             Child Loop BB0_121 Depth 6
                                        ;             Child Loop BB0_123 Depth 6
                                        ;             Child Loop BB0_141 Depth 6
                                        ;             Child Loop BB0_149 Depth 6
                                        ;             Child Loop BB0_155 Depth 6
                                        ;             Child Loop BB0_164 Depth 6
                                        ;             Child Loop BB0_172 Depth 6
                                        ;             Child Loop BB0_175 Depth 6
                                        ;             Child Loop BB0_177 Depth 6
                                        ;             Child Loop BB0_179 Depth 6
                                        ;             Child Loop BB0_181 Depth 6
                                        ;             Child Loop BB0_183 Depth 6
                                        ;             Child Loop BB0_185 Depth 6
                                        ;             Child Loop BB0_209 Depth 6
                                        ;             Child Loop BB0_217 Depth 6
                                        ;             Child Loop BB0_223 Depth 6
                                        ;             Child Loop BB0_232 Depth 6
                                        ;             Child Loop BB0_239 Depth 6
                                        ;             Child Loop BB0_242 Depth 6
                                        ;             Child Loop BB0_247 Depth 6
                                        ;             Child Loop BB0_254 Depth 6
                                        ;             Child Loop BB0_283 Depth 6
                                        ;             Child Loop BB0_291 Depth 6
                                        ;             Child Loop BB0_297 Depth 6
                                        ;             Child Loop BB0_306 Depth 6
	v_mov_b32_e32 v6, 0
	s_and_saveexec_b64 s[16:17], s[14:15]
	s_cbranch_execz .LBB0_77
; %bb.76:                               ;   in Loop: Header=BB0_75 Depth=5
	global_load_dword v6, v[56:57], off glc
.LBB0_77:                               ;   in Loop: Header=BB0_75 Depth=5
	s_or_b64 exec, exec, s[16:17]
	s_waitcnt vmcnt(0)
	v_readfirstlane_b32 s91, v6
	s_cmp_eq_u32 s91, 0x10100
	s_cbranch_scc1 .LBB0_188
; %bb.78:                               ;   in Loop: Header=BB0_75 Depth=5
	v_mov_b32_e32 v6, 0
	s_and_saveexec_b64 s[16:17], s[14:15]
	s_cbranch_execz .LBB0_80
; %bb.79:                               ;   in Loop: Header=BB0_75 Depth=5
	v_mov_b32_e32 v41, v8
	global_atomic_cmpswap v6, v[58:59], v[40:41], off glc
	s_waitcnt vmcnt(0)
	v_cmp_ne_u32_e32 vcc, 0, v6
	v_cndmask_b32_e32 v6, v40, v6, vcc
.LBB0_80:                               ;   in Loop: Header=BB0_75 Depth=5
	s_or_b64 exec, exec, s[16:17]
	v_readfirstlane_b32 s92, v6
	s_cmp_lg_u32 s91, s92
	s_mov_b64 s[16:17], -1
	s_cbranch_scc1 .LBB0_189
; %bb.81:                               ;   in Loop: Header=BB0_75 Depth=5
	v_mbcnt_lo_u32_b32 v7, exec_lo, 0
	v_mbcnt_hi_u32_b32 v7, exec_hi, v7
	v_mov_b32_e32 v6, 0
	v_cmp_eq_u32_e64 s[16:17], 0, v7
	s_and_saveexec_b64 s[18:19], s[16:17]
	s_cbranch_execz .LBB0_83
; %bb.82:                               ;   in Loop: Header=BB0_75 Depth=5
	global_load_dword v6, v[58:59], off glc
.LBB0_83:                               ;   in Loop: Header=BB0_75 Depth=5
	s_or_b64 exec, exec, s[18:19]
	s_waitcnt vmcnt(0)
	v_readfirstlane_b32 s93, v6
	s_cmp_eq_u32 s93, 0x10100
	s_mov_b32 s20, 2
	s_cbranch_scc1 .LBB0_168
; %bb.84:                               ;   in Loop: Header=BB0_75 Depth=5
	v_mov_b32_e32 v6, 1
	s_and_saveexec_b64 s[18:19], s[16:17]
	s_cbranch_execz .LBB0_88
; %bb.85:                               ;   in Loop: Header=BB0_75 Depth=5
	global_load_dwordx2 v[28:29], v[60:61], off glc
	s_memrealtime s[22:23]
	s_waitcnt lgkmcnt(0)
	v_mov_b32_e32 v7, s23
	s_waitcnt vmcnt(0)
	v_sub_co_u32_e32 v6, vcc, s22, v28
	v_subb_co_u32_e32 v7, vcc, v7, v29, vcc
	v_cmp_lt_u64_e32 vcc, s[40:41], v[6:7]
	v_mov_b32_e32 v6, 1
	s_and_saveexec_b64 s[60:61], vcc
	s_cbranch_execz .LBB0_87
; %bb.86:                               ;   in Loop: Header=BB0_75 Depth=5
	v_mov_b32_e32 v26, s22
	v_mov_b32_e32 v27, s23
	global_atomic_cmpswap_x2 v[6:7], v[60:61], v[26:29], off glc
	s_waitcnt vmcnt(0)
	v_cmp_eq_u64_e32 vcc, v[6:7], v[28:29]
	v_cndmask_b32_e64 v6, 1, 2, vcc
.LBB0_87:                               ;   in Loop: Header=BB0_75 Depth=5
	s_or_b64 exec, exec, s[60:61]
.LBB0_88:                               ;   in Loop: Header=BB0_75 Depth=5
	s_or_b64 exec, exec, s[18:19]
	v_readfirstlane_b32 s94, v6
	s_cmp_eq_u32 s94, 1
	s_mov_b32 s20, 1
	s_cbranch_scc1 .LBB0_168
; %bb.89:                               ;   in Loop: Header=BB0_75 Depth=5
	v_pk_mov_b32 v[6:7], 0, 0
	s_and_saveexec_b64 s[60:61], s[16:17]
	s_cbranch_execz .LBB0_118
; %bb.90:                               ;   in Loop: Header=BB0_75 Depth=5
	s_load_dwordx2 s[62:63], s[8:9], 0x50
	v_readfirstlane_b32 s18, v32
	v_cmp_eq_u32_e64 s[18:19], s18, v32
	v_pk_mov_b32 v[6:7], 0, 0
	s_and_saveexec_b64 s[22:23], s[18:19]
	s_cbranch_execz .LBB0_96
; %bb.91:                               ;   in Loop: Header=BB0_75 Depth=5
	s_waitcnt lgkmcnt(0)
	global_load_dwordx2 v[28:29], v8, s[62:63] offset:24 glc
	s_waitcnt vmcnt(0)
	buffer_invl2
	buffer_wbinvl1_vol
	global_load_dwordx2 v[6:7], v8, s[62:63] offset:40
	global_load_dwordx2 v[10:11], v8, s[62:63]
	s_waitcnt vmcnt(1)
	v_and_b32_e32 v6, v6, v28
	v_and_b32_e32 v7, v7, v29
	v_mul_lo_u32 v7, v7, 24
	v_mul_hi_u32 v9, v6, 24
	v_mul_lo_u32 v6, v6, 24
	v_add_u32_e32 v7, v9, v7
	s_waitcnt vmcnt(0)
	v_add_co_u32_e32 v6, vcc, v10, v6
	v_addc_co_u32_e32 v7, vcc, v11, v7, vcc
	global_load_dwordx2 v[26:27], v[6:7], off glc
	s_waitcnt vmcnt(0)
	global_atomic_cmpswap_x2 v[6:7], v8, v[26:29], s[62:63] offset:24 glc
	s_waitcnt vmcnt(0)
	buffer_invl2
	buffer_wbinvl1_vol
	v_cmp_ne_u64_e32 vcc, v[6:7], v[28:29]
	s_and_saveexec_b64 s[64:65], vcc
	s_cbranch_execz .LBB0_95
; %bb.92:                               ;   in Loop: Header=BB0_75 Depth=5
	s_mov_b64 s[66:67], 0
.LBB0_93:                               ;   Parent Loop BB0_3 Depth=1
                                        ;     Parent Loop BB0_6 Depth=2
                                        ;       Parent Loop BB0_11 Depth=3
                                        ;         Parent Loop BB0_43 Depth=4
                                        ;           Parent Loop BB0_75 Depth=5
                                        ; =>          This Inner Loop Header: Depth=6
	s_sleep 1
	global_load_dwordx2 v[10:11], v8, s[62:63] offset:40
	global_load_dwordx2 v[14:15], v8, s[62:63]
	v_pk_mov_b32 v[28:29], v[6:7], v[6:7] op_sel:[0,1]
	s_waitcnt vmcnt(1)
	v_and_b32_e32 v6, v10, v28
	s_waitcnt vmcnt(0)
	v_mad_u64_u32 v[6:7], vcc, v6, 24, v[14:15]
	v_and_b32_e32 v9, v11, v29
	v_mov_b32_e32 v10, v7
	v_mad_u64_u32 v[10:11], vcc, v9, 24, v[10:11]
	v_mov_b32_e32 v7, v10
	global_load_dwordx2 v[26:27], v[6:7], off glc
	s_waitcnt vmcnt(0)
	global_atomic_cmpswap_x2 v[6:7], v8, v[26:29], s[62:63] offset:24 glc
	s_waitcnt vmcnt(0)
	buffer_invl2
	buffer_wbinvl1_vol
	v_cmp_eq_u64_e32 vcc, v[6:7], v[28:29]
	s_or_b64 s[66:67], vcc, s[66:67]
	s_andn2_b64 exec, exec, s[66:67]
	s_cbranch_execnz .LBB0_93
; %bb.94:                               ;   in Loop: Header=BB0_75 Depth=5
	s_or_b64 exec, exec, s[66:67]
.LBB0_95:                               ;   in Loop: Header=BB0_75 Depth=5
	s_or_b64 exec, exec, s[64:65]
.LBB0_96:                               ;   in Loop: Header=BB0_75 Depth=5
	s_or_b64 exec, exec, s[22:23]
	s_waitcnt lgkmcnt(0)
	global_load_dwordx2 v[10:11], v8, s[62:63] offset:40
	global_load_dwordx4 v[26:29], v8, s[62:63]
	v_readfirstlane_b32 s64, v6
	v_readfirstlane_b32 s65, v7
	s_mov_b64 s[22:23], exec
	s_waitcnt vmcnt(1)
	v_readfirstlane_b32 vcc_lo, v10
	v_readfirstlane_b32 vcc_hi, v11
	s_and_b64 s[66:67], s[64:65], vcc
	s_mul_i32 s20, s67, 24
	s_mul_hi_u32 vcc_lo, s66, 24
	s_mul_i32 vcc_hi, s66, 24
	s_add_i32 s20, vcc_lo, s20
	v_mov_b32_e32 v7, s20
	s_waitcnt vmcnt(0)
	v_add_co_u32_e32 v6, vcc, vcc_hi, v26
	v_addc_co_u32_e32 v7, vcc, v27, v7, vcc
	s_and_saveexec_b64 vcc, s[18:19]
	s_cbranch_execz .LBB0_98
; %bb.97:                               ;   in Loop: Header=BB0_75 Depth=5
	v_pk_mov_b32 v[10:11], s[22:23], s[22:23] op_sel:[0,1]
	global_store_dwordx4 v[6:7], v[10:13], off offset:8
.LBB0_98:                               ;   in Loop: Header=BB0_75 Depth=5
	s_or_b64 exec, exec, vcc
	s_lshl_b64 s[22:23], s[66:67], 12
	v_mov_b32_e32 v9, s23
	v_add_co_u32_e32 v10, vcc, s22, v28
	s_mov_b32 s22, s21
	s_mov_b32 s23, s21
	v_addc_co_u32_e32 v9, vcc, v29, v9, vcc
	s_mov_b32 s20, s21
	v_pk_mov_b32 v[50:51], s[22:23], s[22:23] op_sel:[0,1]
	v_lshlrev_b32_e32 v11, 6, v32
	v_mov_b32_e32 v14, v8
	v_mov_b32_e32 v15, v8
	;; [unrolled: 1-line block ×3, first 2 shown]
	v_readfirstlane_b32 s66, v10
	v_readfirstlane_b32 s67, v9
	v_pk_mov_b32 v[48:49], s[20:21], s[20:21] op_sel:[0,1]
	s_nop 3
	global_store_dwordx4 v11, v[14:17], s[66:67]
	global_store_dwordx4 v11, v[48:51], s[66:67] offset:16
	global_store_dwordx4 v11, v[48:51], s[66:67] offset:32
	;; [unrolled: 1-line block ×3, first 2 shown]
	s_and_saveexec_b64 s[22:23], s[18:19]
	s_cbranch_execz .LBB0_106
; %bb.99:                               ;   in Loop: Header=BB0_75 Depth=5
	global_load_dwordx2 v[50:51], v8, s[62:63] offset:32 glc
	global_load_dwordx2 v[14:15], v8, s[62:63] offset:40
	v_mov_b32_e32 v48, s64
	v_mov_b32_e32 v49, s65
	s_waitcnt vmcnt(0)
	v_and_b32_e32 v14, s64, v14
	v_and_b32_e32 v15, s65, v15
	v_mul_lo_u32 v15, v15, 24
	v_mul_hi_u32 v17, v14, 24
	v_mul_lo_u32 v14, v14, 24
	v_add_u32_e32 v15, v17, v15
	v_add_co_u32_e32 v14, vcc, v26, v14
	v_addc_co_u32_e32 v15, vcc, v27, v15, vcc
	global_store_dwordx2 v[14:15], v[50:51], off
	buffer_wbl2
	s_waitcnt vmcnt(0)
	global_atomic_cmpswap_x2 v[28:29], v8, v[48:51], s[62:63] offset:32 glc
	s_waitcnt vmcnt(0)
	v_cmp_ne_u64_e32 vcc, v[28:29], v[50:51]
	s_and_saveexec_b64 s[66:67], vcc
	s_cbranch_execz .LBB0_102
; %bb.100:                              ;   in Loop: Header=BB0_75 Depth=5
	s_mov_b64 s[68:69], 0
.LBB0_101:                              ;   Parent Loop BB0_3 Depth=1
                                        ;     Parent Loop BB0_6 Depth=2
                                        ;       Parent Loop BB0_11 Depth=3
                                        ;         Parent Loop BB0_43 Depth=4
                                        ;           Parent Loop BB0_75 Depth=5
                                        ; =>          This Inner Loop Header: Depth=6
	s_sleep 1
	global_store_dwordx2 v[14:15], v[28:29], off
	v_mov_b32_e32 v26, s64
	v_mov_b32_e32 v27, s65
	buffer_wbl2
	s_waitcnt vmcnt(0)
	global_atomic_cmpswap_x2 v[18:19], v8, v[26:29], s[62:63] offset:32 glc
	s_waitcnt vmcnt(0)
	v_cmp_eq_u64_e32 vcc, v[18:19], v[28:29]
	s_or_b64 s[68:69], vcc, s[68:69]
	v_pk_mov_b32 v[28:29], v[18:19], v[18:19] op_sel:[0,1]
	s_andn2_b64 exec, exec, s[68:69]
	s_cbranch_execnz .LBB0_101
.LBB0_102:                              ;   in Loop: Header=BB0_75 Depth=5
	s_or_b64 exec, exec, s[66:67]
	global_load_dwordx2 v[14:15], v8, s[62:63] offset:16
	s_mov_b64 s[68:69], exec
	v_mbcnt_lo_u32_b32 v17, s68, 0
	v_mbcnt_hi_u32_b32 v17, s69, v17
	v_cmp_eq_u32_e32 vcc, 0, v17
	s_and_saveexec_b64 s[66:67], vcc
	s_cbranch_execz .LBB0_104
; %bb.103:                              ;   in Loop: Header=BB0_75 Depth=5
	s_bcnt1_i32_b64 s20, s[68:69]
	v_mov_b32_e32 v18, s20
	v_mov_b32_e32 v19, v8
	buffer_wbl2
	s_waitcnt vmcnt(0)
	global_atomic_add_x2 v[14:15], v[18:19], off offset:8
.LBB0_104:                              ;   in Loop: Header=BB0_75 Depth=5
	s_or_b64 exec, exec, s[66:67]
	s_waitcnt vmcnt(0)
	global_load_dwordx2 v[18:19], v[14:15], off offset:16
	s_waitcnt vmcnt(0)
	v_cmp_eq_u64_e32 vcc, 0, v[18:19]
	s_cbranch_vccnz .LBB0_106
; %bb.105:                              ;   in Loop: Header=BB0_75 Depth=5
	global_load_dword v14, v[14:15], off offset:24
	v_mov_b32_e32 v15, v8
	buffer_wbl2
	s_waitcnt vmcnt(0)
	global_store_dwordx2 v[18:19], v[14:15], off
	v_and_b32_e32 v14, 0xffffff, v14
	v_readfirstlane_b32 m0, v14
	s_sendmsg sendmsg(MSG_INTERRUPT)
.LBB0_106:                              ;   in Loop: Header=BB0_75 Depth=5
	s_or_b64 exec, exec, s[22:23]
	v_add_co_u32_e32 v10, vcc, v10, v11
	v_addc_co_u32_e32 v11, vcc, 0, v9, vcc
.LBB0_107:                              ;   Parent Loop BB0_3 Depth=1
                                        ;     Parent Loop BB0_6 Depth=2
                                        ;       Parent Loop BB0_11 Depth=3
                                        ;         Parent Loop BB0_43 Depth=4
                                        ;           Parent Loop BB0_75 Depth=5
                                        ; =>          This Inner Loop Header: Depth=6
	v_mov_b32_e32 v9, 1
	s_and_saveexec_b64 s[22:23], s[18:19]
	s_cbranch_execz .LBB0_109
; %bb.108:                              ;   in Loop: Header=BB0_107 Depth=6
	global_load_dword v9, v[6:7], off offset:20 glc
	s_waitcnt vmcnt(0)
	buffer_invl2
	buffer_wbinvl1_vol
	v_and_b32_e32 v9, 1, v9
.LBB0_109:                              ;   in Loop: Header=BB0_107 Depth=6
	s_or_b64 exec, exec, s[22:23]
	v_readfirstlane_b32 s20, v9
	s_cmp_eq_u32 s20, 0
	s_cbranch_scc1 .LBB0_111
; %bb.110:                              ;   in Loop: Header=BB0_107 Depth=6
	s_mov_b64 s[22:23], 0
	s_sleep 1
	s_branch .LBB0_112
.LBB0_111:                              ;   in Loop: Header=BB0_107 Depth=6
	s_mov_b64 s[22:23], -1
.LBB0_112:                              ;   in Loop: Header=BB0_107 Depth=6
	s_andn2_b64 vcc, exec, s[22:23]
	s_cbranch_vccnz .LBB0_107
; %bb.113:                              ;   in Loop: Header=BB0_75 Depth=5
	global_load_dwordx2 v[6:7], v[10:11], off
	s_and_saveexec_b64 s[22:23], s[18:19]
	s_cbranch_execz .LBB0_117
; %bb.114:                              ;   in Loop: Header=BB0_75 Depth=5
	global_load_dwordx2 v[10:11], v8, s[62:63] offset:40
	global_load_dwordx2 v[14:15], v8, s[62:63] offset:24 glc
	global_load_dwordx2 v[18:19], v8, s[62:63]
	v_mov_b32_e32 v9, s65
	s_waitcnt vmcnt(2)
	v_add_co_u32_e32 v17, vcc, 1, v10
	v_addc_co_u32_e32 v21, vcc, 0, v11, vcc
	v_add_co_u32_e32 v26, vcc, s64, v17
	v_addc_co_u32_e32 v27, vcc, v21, v9, vcc
	v_cmp_eq_u64_e32 vcc, 0, v[26:27]
	v_cndmask_b32_e32 v27, v27, v21, vcc
	v_cndmask_b32_e32 v26, v26, v17, vcc
	v_and_b32_e32 v9, v27, v11
	v_and_b32_e32 v10, v26, v10
	v_mul_lo_u32 v9, v9, 24
	v_mul_hi_u32 v11, v10, 24
	v_mul_lo_u32 v10, v10, 24
	v_add_u32_e32 v9, v11, v9
	s_waitcnt vmcnt(0)
	v_add_co_u32_e32 v10, vcc, v18, v10
	v_addc_co_u32_e32 v11, vcc, v19, v9, vcc
	v_mov_b32_e32 v28, v14
	global_store_dwordx2 v[10:11], v[14:15], off
	v_mov_b32_e32 v29, v15
	buffer_wbl2
	s_waitcnt vmcnt(0)
	global_atomic_cmpswap_x2 v[28:29], v8, v[26:29], s[62:63] offset:24 glc
	s_waitcnt vmcnt(0)
	v_cmp_ne_u64_e32 vcc, v[28:29], v[14:15]
	s_and_b64 exec, exec, vcc
	s_cbranch_execz .LBB0_117
; %bb.115:                              ;   in Loop: Header=BB0_75 Depth=5
	s_mov_b64 s[18:19], 0
.LBB0_116:                              ;   Parent Loop BB0_3 Depth=1
                                        ;     Parent Loop BB0_6 Depth=2
                                        ;       Parent Loop BB0_11 Depth=3
                                        ;         Parent Loop BB0_43 Depth=4
                                        ;           Parent Loop BB0_75 Depth=5
                                        ; =>          This Inner Loop Header: Depth=6
	s_sleep 1
	global_store_dwordx2 v[10:11], v[28:29], off
	buffer_wbl2
	s_waitcnt vmcnt(0)
	global_atomic_cmpswap_x2 v[14:15], v8, v[26:29], s[62:63] offset:24 glc
	s_waitcnt vmcnt(0)
	v_cmp_eq_u64_e32 vcc, v[14:15], v[28:29]
	s_or_b64 s[18:19], vcc, s[18:19]
	v_pk_mov_b32 v[28:29], v[14:15], v[14:15] op_sel:[0,1]
	s_andn2_b64 exec, exec, s[18:19]
	s_cbranch_execnz .LBB0_116
.LBB0_117:                              ;   in Loop: Header=BB0_75 Depth=5
	s_or_b64 exec, exec, s[22:23]
.LBB0_118:                              ;   in Loop: Header=BB0_75 Depth=5
	s_or_b64 exec, exec, s[60:61]
	s_waitcnt vmcnt(0)
	v_readfirstlane_b32 s22, v6
	v_readfirstlane_b32 s23, v7
	s_cmp_eq_u64 s[22:23], 0
	s_cbranch_scc1 .LBB0_167
; %bb.119:                              ;   in Loop: Header=BB0_75 Depth=5
	s_mov_b64 s[18:19], exec
	v_mbcnt_lo_u32_b32 v6, exec_lo, 0
	v_mbcnt_hi_u32_b32 v10, s19, v6
	v_cmp_gt_u32_e32 vcc, s84, v10
	s_and_saveexec_b64 s[60:61], vcc
	s_cbranch_execz .LBB0_122
; %bb.120:                              ;   in Loop: Header=BB0_75 Depth=5
	v_lshlrev_b32_e32 v6, 3, v10
	s_bcnt1_i32_b64 s20, s[18:19]
	v_mov_b32_e32 v7, s23
	v_add_co_u32_e32 v6, vcc, s22, v6
	v_addc_co_u32_e32 v7, vcc, 0, v7, vcc
	s_lshl_b32 s64, s20, 3
	s_mov_b64 s[62:63], 0
.LBB0_121:                              ;   Parent Loop BB0_3 Depth=1
                                        ;     Parent Loop BB0_6 Depth=2
                                        ;       Parent Loop BB0_11 Depth=3
                                        ;         Parent Loop BB0_43 Depth=4
                                        ;           Parent Loop BB0_75 Depth=5
                                        ; =>          This Inner Loop Header: Depth=6
	v_mov_b32_e32 v9, v8
	v_add_u32_e32 v10, s20, v10
	v_mov_b32_e32 v11, s21
	global_store_dwordx2 v[6:7], v[8:9], off
	v_cmp_lt_u32_e32 vcc, s85, v10
	v_add_co_u32_e64 v6, s[18:19], s64, v6
	s_or_b64 s[62:63], vcc, s[62:63]
	v_addc_co_u32_e64 v7, vcc, v7, v11, s[18:19]
	s_andn2_b64 exec, exec, s[62:63]
	s_cbranch_execnz .LBB0_121
.LBB0_122:                              ;   in Loop: Header=BB0_75 Depth=5
	s_or_b64 exec, exec, s[60:61]
.LBB0_123:                              ;   Parent Loop BB0_3 Depth=1
                                        ;     Parent Loop BB0_6 Depth=2
                                        ;       Parent Loop BB0_11 Depth=3
                                        ;         Parent Loop BB0_43 Depth=4
                                        ;           Parent Loop BB0_75 Depth=5
                                        ; =>          This Inner Loop Header: Depth=6
	v_mov_b32_e32 v6, s93
	s_and_saveexec_b64 s[18:19], s[16:17]
	s_cbranch_execz .LBB0_125
; %bb.124:                              ;   in Loop: Header=BB0_123 Depth=6
	global_load_dword v6, v[58:59], off glc
.LBB0_125:                              ;   in Loop: Header=BB0_123 Depth=6
	s_or_b64 exec, exec, s[18:19]
	s_waitcnt vmcnt(0)
	v_readfirstlane_b32 s93, v6
	s_cmp_lg_u32 s93, 0x10100
	s_mov_b64 s[60:61], -1
	s_cbranch_scc0 .LBB0_132
; %bb.126:                              ;   in Loop: Header=BB0_123 Depth=6
	v_mov_b32_e32 v6, s94
	s_and_saveexec_b64 s[18:19], s[16:17]
	s_cbranch_execz .LBB0_130
; %bb.127:                              ;   in Loop: Header=BB0_123 Depth=6
	s_add_i32 s20, s93, 0xffffff00
	v_pk_mov_b32 v[6:7], s[30:31], s[30:31] op_sel:[0,1]
	s_lshr_b32 s20, s20, 8
	v_mad_u64_u32 v[6:7], vcc, v22, s82, v[6:7]
	v_mad_u64_u32 v[10:11], vcc, s20, 24, v[6:7]
	v_mov_b32_e32 v6, s22
	v_mov_b32_e32 v7, s23
	;; [unrolled: 1-line block ×3, first 2 shown]
	global_atomic_cmpswap_x2 v[6:7], v[10:11], v[6:9], off glc
	s_waitcnt vmcnt(0)
	v_cmp_eq_u64_e32 vcc, 0, v[6:7]
	v_mov_b32_e32 v6, s94
	s_and_saveexec_b64 s[60:61], vcc
	s_cbranch_execz .LBB0_129
; %bb.128:                              ;   in Loop: Header=BB0_123 Depth=6
	global_atomic_add v[58:59], v40, off
	v_mov_b32_e32 v6, 0
.LBB0_129:                              ;   in Loop: Header=BB0_123 Depth=6
	s_or_b64 exec, exec, s[60:61]
.LBB0_130:                              ;   in Loop: Header=BB0_123 Depth=6
	s_or_b64 exec, exec, s[18:19]
	v_readfirstlane_b32 vcc_lo, v6
	s_cmp_eq_u32 vcc_lo, 0
	s_cbranch_scc1 .LBB0_133
; %bb.131:                              ;   in Loop: Header=BB0_123 Depth=6
	s_mov_b64 s[18:19], 0
	s_sleep 2
                                        ; implicit-def: $sgpr94
	s_branch .LBB0_134
.LBB0_132:                              ;   in Loop: Header=BB0_123 Depth=6
                                        ; implicit-def: $sgpr93
                                        ; implicit-def: $sgpr20
	s_mov_b32 s68, s94
	s_mov_b64 s[18:19], -1
	s_branch .LBB0_135
.LBB0_133:                              ;   in Loop: Header=BB0_123 Depth=6
	s_mov_b64 s[18:19], -1
                                        ; implicit-def: $sgpr93
                                        ; implicit-def: $vcc_lo
.LBB0_134:                              ;   in Loop: Header=BB0_123 Depth=6
	s_mov_b32 s68, s94
	s_mov_b32 s20, 0
	s_mov_b64 s[60:61], 0
	s_mov_b32 s94, vcc_lo
.LBB0_135:                              ;   in Loop: Header=BB0_123 Depth=6
	s_and_b64 vcc, exec, s[18:19]
	s_cbranch_vccz .LBB0_123
; %bb.136:                              ;   in Loop: Header=BB0_75 Depth=5
	s_and_b64 vcc, exec, s[60:61]
	s_cbranch_vccz .LBB0_166
; %bb.137:                              ;   in Loop: Header=BB0_75 Depth=5
	s_and_saveexec_b64 s[18:19], s[16:17]
	s_cbranch_execz .LBB0_165
; %bb.138:                              ;   in Loop: Header=BB0_75 Depth=5
	s_load_dwordx2 s[60:61], s[8:9], 0x50
	v_readfirstlane_b32 s16, v32
	v_cmp_eq_u32_e64 s[16:17], s16, v32
	v_pk_mov_b32 v[6:7], 0, 0
	s_and_saveexec_b64 s[62:63], s[16:17]
	s_cbranch_execz .LBB0_144
; %bb.139:                              ;   in Loop: Header=BB0_75 Depth=5
	s_waitcnt lgkmcnt(0)
	global_load_dwordx2 v[28:29], v8, s[60:61] offset:24 glc
	s_waitcnt vmcnt(0)
	buffer_invl2
	buffer_wbinvl1_vol
	global_load_dwordx2 v[6:7], v8, s[60:61] offset:40
	global_load_dwordx2 v[10:11], v8, s[60:61]
	s_waitcnt vmcnt(1)
	v_and_b32_e32 v6, v6, v28
	v_and_b32_e32 v7, v7, v29
	v_mul_lo_u32 v7, v7, 24
	v_mul_hi_u32 v9, v6, 24
	v_mul_lo_u32 v6, v6, 24
	v_add_u32_e32 v7, v9, v7
	s_waitcnt vmcnt(0)
	v_add_co_u32_e32 v6, vcc, v10, v6
	v_addc_co_u32_e32 v7, vcc, v11, v7, vcc
	global_load_dwordx2 v[26:27], v[6:7], off glc
	s_waitcnt vmcnt(0)
	global_atomic_cmpswap_x2 v[6:7], v8, v[26:29], s[60:61] offset:24 glc
	s_waitcnt vmcnt(0)
	buffer_invl2
	buffer_wbinvl1_vol
	v_cmp_ne_u64_e32 vcc, v[6:7], v[28:29]
	s_and_saveexec_b64 s[64:65], vcc
	s_cbranch_execz .LBB0_143
; %bb.140:                              ;   in Loop: Header=BB0_75 Depth=5
	s_mov_b64 s[66:67], 0
.LBB0_141:                              ;   Parent Loop BB0_3 Depth=1
                                        ;     Parent Loop BB0_6 Depth=2
                                        ;       Parent Loop BB0_11 Depth=3
                                        ;         Parent Loop BB0_43 Depth=4
                                        ;           Parent Loop BB0_75 Depth=5
                                        ; =>          This Inner Loop Header: Depth=6
	s_sleep 1
	global_load_dwordx2 v[10:11], v8, s[60:61] offset:40
	global_load_dwordx2 v[14:15], v8, s[60:61]
	v_pk_mov_b32 v[28:29], v[6:7], v[6:7] op_sel:[0,1]
	s_waitcnt vmcnt(1)
	v_and_b32_e32 v6, v10, v28
	s_waitcnt vmcnt(0)
	v_mad_u64_u32 v[6:7], vcc, v6, 24, v[14:15]
	v_and_b32_e32 v9, v11, v29
	v_mov_b32_e32 v10, v7
	v_mad_u64_u32 v[10:11], vcc, v9, 24, v[10:11]
	v_mov_b32_e32 v7, v10
	global_load_dwordx2 v[26:27], v[6:7], off glc
	s_waitcnt vmcnt(0)
	global_atomic_cmpswap_x2 v[6:7], v8, v[26:29], s[60:61] offset:24 glc
	s_waitcnt vmcnt(0)
	buffer_invl2
	buffer_wbinvl1_vol
	v_cmp_eq_u64_e32 vcc, v[6:7], v[28:29]
	s_or_b64 s[66:67], vcc, s[66:67]
	s_andn2_b64 exec, exec, s[66:67]
	s_cbranch_execnz .LBB0_141
; %bb.142:                              ;   in Loop: Header=BB0_75 Depth=5
	s_or_b64 exec, exec, s[66:67]
.LBB0_143:                              ;   in Loop: Header=BB0_75 Depth=5
	s_or_b64 exec, exec, s[64:65]
.LBB0_144:                              ;   in Loop: Header=BB0_75 Depth=5
	s_or_b64 exec, exec, s[62:63]
	s_waitcnt lgkmcnt(0)
	global_load_dwordx2 v[10:11], v8, s[60:61] offset:40
	global_load_dwordx4 v[26:29], v8, s[60:61]
	v_readfirstlane_b32 s62, v6
	v_readfirstlane_b32 s63, v7
	s_mov_b64 s[64:65], exec
	s_waitcnt vmcnt(1)
	v_readfirstlane_b32 vcc_lo, v10
	v_readfirstlane_b32 vcc_hi, v11
	s_and_b64 s[66:67], s[62:63], vcc
	s_mul_i32 s20, s67, 24
	s_mul_hi_u32 vcc_lo, s66, 24
	s_mul_i32 vcc_hi, s66, 24
	s_add_i32 s20, vcc_lo, s20
	v_mov_b32_e32 v7, s20
	s_waitcnt vmcnt(0)
	v_add_co_u32_e32 v6, vcc, vcc_hi, v26
	v_addc_co_u32_e32 v7, vcc, v27, v7, vcc
	s_and_saveexec_b64 vcc, s[16:17]
	s_cbranch_execz .LBB0_146
; %bb.145:                              ;   in Loop: Header=BB0_75 Depth=5
	v_pk_mov_b32 v[10:11], s[64:65], s[64:65] op_sel:[0,1]
	global_store_dwordx4 v[6:7], v[10:13], off offset:8
.LBB0_146:                              ;   in Loop: Header=BB0_75 Depth=5
	s_or_b64 exec, exec, vcc
	s_lshl_b64 vcc, s[66:67], 12
	v_mov_b32_e32 v9, vcc_hi
	v_add_co_u32_e32 v10, vcc, vcc_lo, v28
	v_pk_mov_b32 v[14:15], s[22:23], s[22:23] op_sel:[0,1]
	s_mov_b32 s22, s21
	s_mov_b32 s23, s21
	v_addc_co_u32_e32 v9, vcc, v29, v9, vcc
	s_mov_b32 s20, s21
	v_pk_mov_b32 v[50:51], s[22:23], s[22:23] op_sel:[0,1]
	v_lshlrev_b32_e32 v11, 6, v32
	v_readfirstlane_b32 s64, v10
	v_readfirstlane_b32 s65, v9
	v_pk_mov_b32 v[48:49], s[20:21], s[20:21] op_sel:[0,1]
	v_mov_b32_e32 v9, v8
	s_nop 2
	global_store_dwordx2 v11, v[14:15], s[64:65]
	global_store_dwordx4 v11, v[48:51], s[64:65] offset:8
	global_store_dwordx4 v11, v[48:51], s[64:65] offset:24
	;; [unrolled: 1-line block ×3, first 2 shown]
	global_store_dwordx2 v11, v[8:9], s[64:65] offset:56
	s_and_saveexec_b64 s[22:23], s[16:17]
	s_cbranch_execz .LBB0_154
; %bb.147:                              ;   in Loop: Header=BB0_75 Depth=5
	global_load_dwordx2 v[50:51], v8, s[60:61] offset:32 glc
	global_load_dwordx2 v[10:11], v8, s[60:61] offset:40
	v_mov_b32_e32 v48, s62
	v_mov_b32_e32 v49, s63
	s_waitcnt vmcnt(0)
	v_and_b32_e32 v9, s62, v10
	v_and_b32_e32 v10, s63, v11
	v_mul_lo_u32 v10, v10, 24
	v_mul_hi_u32 v11, v9, 24
	v_mul_lo_u32 v9, v9, 24
	v_add_u32_e32 v11, v11, v10
	v_add_co_u32_e32 v10, vcc, v26, v9
	v_addc_co_u32_e32 v11, vcc, v27, v11, vcc
	global_store_dwordx2 v[10:11], v[50:51], off
	buffer_wbl2
	s_waitcnt vmcnt(0)
	global_atomic_cmpswap_x2 v[28:29], v8, v[48:51], s[60:61] offset:32 glc
	s_waitcnt vmcnt(0)
	v_cmp_ne_u64_e32 vcc, v[28:29], v[50:51]
	s_and_saveexec_b64 s[64:65], vcc
	s_cbranch_execz .LBB0_150
; %bb.148:                              ;   in Loop: Header=BB0_75 Depth=5
	s_mov_b64 s[66:67], 0
.LBB0_149:                              ;   Parent Loop BB0_3 Depth=1
                                        ;     Parent Loop BB0_6 Depth=2
                                        ;       Parent Loop BB0_11 Depth=3
                                        ;         Parent Loop BB0_43 Depth=4
                                        ;           Parent Loop BB0_75 Depth=5
                                        ; =>          This Inner Loop Header: Depth=6
	s_sleep 1
	global_store_dwordx2 v[10:11], v[28:29], off
	v_mov_b32_e32 v26, s62
	v_mov_b32_e32 v27, s63
	buffer_wbl2
	s_waitcnt vmcnt(0)
	global_atomic_cmpswap_x2 v[14:15], v8, v[26:29], s[60:61] offset:32 glc
	s_waitcnt vmcnt(0)
	v_cmp_eq_u64_e32 vcc, v[14:15], v[28:29]
	s_or_b64 s[66:67], vcc, s[66:67]
	v_pk_mov_b32 v[28:29], v[14:15], v[14:15] op_sel:[0,1]
	s_andn2_b64 exec, exec, s[66:67]
	s_cbranch_execnz .LBB0_149
.LBB0_150:                              ;   in Loop: Header=BB0_75 Depth=5
	s_or_b64 exec, exec, s[64:65]
	global_load_dwordx2 v[10:11], v8, s[60:61] offset:16
	s_mov_b64 s[66:67], exec
	v_mbcnt_lo_u32_b32 v9, s66, 0
	v_mbcnt_hi_u32_b32 v9, s67, v9
	v_cmp_eq_u32_e32 vcc, 0, v9
	s_and_saveexec_b64 s[64:65], vcc
	s_cbranch_execz .LBB0_152
; %bb.151:                              ;   in Loop: Header=BB0_75 Depth=5
	s_bcnt1_i32_b64 s20, s[66:67]
	v_mov_b32_e32 v14, s20
	v_mov_b32_e32 v15, v8
	buffer_wbl2
	s_waitcnt vmcnt(0)
	global_atomic_add_x2 v[10:11], v[14:15], off offset:8
.LBB0_152:                              ;   in Loop: Header=BB0_75 Depth=5
	s_or_b64 exec, exec, s[64:65]
	s_waitcnt vmcnt(0)
	global_load_dwordx2 v[14:15], v[10:11], off offset:16
	s_waitcnt vmcnt(0)
	v_cmp_eq_u64_e32 vcc, 0, v[14:15]
	s_cbranch_vccnz .LBB0_154
; %bb.153:                              ;   in Loop: Header=BB0_75 Depth=5
	global_load_dword v10, v[10:11], off offset:24
	v_mov_b32_e32 v11, v8
	s_waitcnt vmcnt(0)
	v_and_b32_e32 v9, 0xffffff, v10
	v_readfirstlane_b32 m0, v9
	buffer_wbl2
	global_store_dwordx2 v[14:15], v[10:11], off
	s_sendmsg sendmsg(MSG_INTERRUPT)
.LBB0_154:                              ;   in Loop: Header=BB0_75 Depth=5
	s_or_b64 exec, exec, s[22:23]
.LBB0_155:                              ;   Parent Loop BB0_3 Depth=1
                                        ;     Parent Loop BB0_6 Depth=2
                                        ;       Parent Loop BB0_11 Depth=3
                                        ;         Parent Loop BB0_43 Depth=4
                                        ;           Parent Loop BB0_75 Depth=5
                                        ; =>          This Inner Loop Header: Depth=6
	v_mov_b32_e32 v9, 1
	s_and_saveexec_b64 s[22:23], s[16:17]
	s_cbranch_execz .LBB0_157
; %bb.156:                              ;   in Loop: Header=BB0_155 Depth=6
	global_load_dword v9, v[6:7], off offset:20 glc
	s_waitcnt vmcnt(0)
	buffer_invl2
	buffer_wbinvl1_vol
	v_and_b32_e32 v9, 1, v9
.LBB0_157:                              ;   in Loop: Header=BB0_155 Depth=6
	s_or_b64 exec, exec, s[22:23]
	v_readfirstlane_b32 s20, v9
	s_cmp_eq_u32 s20, 0
	s_cbranch_scc1 .LBB0_159
; %bb.158:                              ;   in Loop: Header=BB0_155 Depth=6
	s_mov_b64 s[22:23], 0
	s_sleep 1
	s_branch .LBB0_160
.LBB0_159:                              ;   in Loop: Header=BB0_155 Depth=6
	s_mov_b64 s[22:23], -1
.LBB0_160:                              ;   in Loop: Header=BB0_155 Depth=6
	s_andn2_b64 vcc, exec, s[22:23]
	s_cbranch_vccnz .LBB0_155
; %bb.161:                              ;   in Loop: Header=BB0_75 Depth=5
	s_and_b64 exec, exec, s[16:17]
	s_cbranch_execz .LBB0_165
; %bb.162:                              ;   in Loop: Header=BB0_75 Depth=5
	global_load_dwordx2 v[6:7], v8, s[60:61] offset:40
	global_load_dwordx2 v[10:11], v8, s[60:61] offset:24 glc
	global_load_dwordx2 v[14:15], v8, s[60:61]
	v_mov_b32_e32 v9, s63
	s_waitcnt vmcnt(2)
	v_add_co_u32_e32 v17, vcc, 1, v6
	v_addc_co_u32_e32 v21, vcc, 0, v7, vcc
	v_add_co_u32_e32 v18, vcc, s62, v17
	v_addc_co_u32_e32 v19, vcc, v21, v9, vcc
	v_cmp_eq_u64_e32 vcc, 0, v[18:19]
	v_cndmask_b32_e32 v27, v19, v21, vcc
	v_cndmask_b32_e32 v26, v18, v17, vcc
	v_and_b32_e32 v7, v27, v7
	v_and_b32_e32 v6, v26, v6
	v_mul_lo_u32 v7, v7, 24
	v_mul_hi_u32 v9, v6, 24
	v_mul_lo_u32 v6, v6, 24
	v_add_u32_e32 v7, v9, v7
	s_waitcnt vmcnt(0)
	v_add_co_u32_e32 v6, vcc, v14, v6
	v_addc_co_u32_e32 v7, vcc, v15, v7, vcc
	v_mov_b32_e32 v28, v10
	global_store_dwordx2 v[6:7], v[10:11], off
	v_mov_b32_e32 v29, v11
	buffer_wbl2
	s_waitcnt vmcnt(0)
	global_atomic_cmpswap_x2 v[28:29], v8, v[26:29], s[60:61] offset:24 glc
	s_waitcnt vmcnt(0)
	v_cmp_ne_u64_e32 vcc, v[28:29], v[10:11]
	s_and_b64 exec, exec, vcc
	s_cbranch_execz .LBB0_165
; %bb.163:                              ;   in Loop: Header=BB0_75 Depth=5
	s_mov_b64 s[16:17], 0
.LBB0_164:                              ;   Parent Loop BB0_3 Depth=1
                                        ;     Parent Loop BB0_6 Depth=2
                                        ;       Parent Loop BB0_11 Depth=3
                                        ;         Parent Loop BB0_43 Depth=4
                                        ;           Parent Loop BB0_75 Depth=5
                                        ; =>          This Inner Loop Header: Depth=6
	s_sleep 1
	global_store_dwordx2 v[6:7], v[28:29], off
	buffer_wbl2
	s_waitcnt vmcnt(0)
	global_atomic_cmpswap_x2 v[10:11], v8, v[26:29], s[60:61] offset:24 glc
	s_waitcnt vmcnt(0)
	v_cmp_eq_u64_e32 vcc, v[10:11], v[28:29]
	s_or_b64 s[16:17], vcc, s[16:17]
	v_pk_mov_b32 v[28:29], v[10:11], v[10:11] op_sel:[0,1]
	s_andn2_b64 exec, exec, s[16:17]
	s_cbranch_execnz .LBB0_164
.LBB0_165:                              ;   in Loop: Header=BB0_75 Depth=5
	s_or_b64 exec, exec, s[18:19]
	s_mov_b32 s20, s68
.LBB0_166:                              ;   in Loop: Header=BB0_75 Depth=5
	s_mov_b32 s94, s20
.LBB0_167:                              ;   in Loop: Header=BB0_75 Depth=5
	s_mov_b32 s20, s94
.LBB0_168:                              ;   in Loop: Header=BB0_75 Depth=5
	s_cmp_eq_u32 s20, 0
	s_cselect_b64 s[16:17], -1, 0
	s_and_b64 vcc, exec, s[16:17]
	s_cbranch_vccnz .LBB0_187
; %bb.169:                              ;   in Loop: Header=BB0_75 Depth=5
	v_mbcnt_lo_u32_b32 v6, exec_lo, 0
	v_mbcnt_hi_u32_b32 v6, exec_hi, v6
	v_cmp_eq_u32_e32 vcc, 0, v6
	s_and_saveexec_b64 s[18:19], vcc
	s_cbranch_execz .LBB0_186
; %bb.170:                              ;   in Loop: Header=BB0_75 Depth=5
	global_load_dwordx2 v[6:7], v[60:61], off glc
	s_memrealtime s[22:23]
	s_waitcnt lgkmcnt(0)
	v_mov_b32_e32 v9, s23
	s_waitcnt vmcnt(0)
	v_sub_co_u32_e32 v6, vcc, s22, v6
	v_subb_co_u32_e32 v7, vcc, v9, v7, vcc
	v_cmp_gt_u64_e32 vcc, s[42:43], v[6:7]
	s_and_b64 exec, exec, vcc
	s_cbranch_execz .LBB0_186
; %bb.171:                              ;   in Loop: Header=BB0_75 Depth=5
	s_memrealtime s[58:59]
	v_sub_u32_e32 v6, 0x7530, v6
	v_readfirstlane_b32 s22, v6
	s_ashr_i32 s23, s22, 31
	s_waitcnt lgkmcnt(0)
	s_add_u32 s22, s58, s22
	s_addc_u32 s23, s59, s23
.LBB0_172:                              ;   Parent Loop BB0_3 Depth=1
                                        ;     Parent Loop BB0_6 Depth=2
                                        ;       Parent Loop BB0_11 Depth=3
                                        ;         Parent Loop BB0_43 Depth=4
                                        ;           Parent Loop BB0_75 Depth=5
                                        ; =>          This Inner Loop Header: Depth=6
	s_waitcnt lgkmcnt(0)
	s_add_u32 vcc_lo, s58, 0x659
	s_addc_u32 vcc_hi, s59, 0
	v_pk_mov_b32 v[6:7], vcc, vcc op_sel:[0,1]
	v_cmp_le_u64_e32 vcc, s[22:23], v[6:7]
	s_cbranch_vccnz .LBB0_175
; %bb.173:                              ;   in Loop: Header=BB0_172 Depth=6
	s_sleep 0x7f
	s_memrealtime s[58:59]
	s_branch .LBB0_172
.LBB0_174:                              ;   in Loop: Header=BB0_175 Depth=6
	s_sleep 63
	s_memrealtime s[58:59]
.LBB0_175:                              ;   Parent Loop BB0_3 Depth=1
                                        ;     Parent Loop BB0_6 Depth=2
                                        ;       Parent Loop BB0_11 Depth=3
                                        ;         Parent Loop BB0_43 Depth=4
                                        ;           Parent Loop BB0_75 Depth=5
                                        ; =>          This Inner Loop Header: Depth=6
	s_waitcnt lgkmcnt(0)
	s_add_u32 vcc_lo, s58, 0x326
	s_addc_u32 vcc_hi, s59, 0
	v_pk_mov_b32 v[6:7], vcc, vcc op_sel:[0,1]
	v_cmp_le_u64_e32 vcc, s[22:23], v[6:7]
	s_cbranch_vccz .LBB0_174
; %bb.176:                              ;   in Loop: Header=BB0_75 Depth=5
	s_add_u32 vcc_lo, s58, 0x18c
	s_addc_u32 vcc_hi, s59, 0
	v_pk_mov_b32 v[6:7], vcc, vcc op_sel:[0,1]
	v_cmp_le_u64_e32 vcc, s[22:23], v[6:7]
	s_cbranch_vccnz .LBB0_179
.LBB0_177:                              ;   Parent Loop BB0_3 Depth=1
                                        ;     Parent Loop BB0_6 Depth=2
                                        ;       Parent Loop BB0_11 Depth=3
                                        ;         Parent Loop BB0_43 Depth=4
                                        ;           Parent Loop BB0_75 Depth=5
                                        ; =>          This Inner Loop Header: Depth=6
	s_sleep 31
	s_memrealtime s[58:59]
	s_waitcnt lgkmcnt(0)
	s_add_u32 vcc_lo, s58, 0x18c
	s_addc_u32 vcc_hi, s59, 0
	v_pk_mov_b32 v[6:7], vcc, vcc op_sel:[0,1]
	v_cmp_gt_u64_e32 vcc, s[22:23], v[6:7]
	s_cbranch_vccnz .LBB0_177
	s_branch .LBB0_179
.LBB0_178:                              ;   in Loop: Header=BB0_179 Depth=6
	s_sleep 15
	s_memrealtime s[58:59]
.LBB0_179:                              ;   Parent Loop BB0_3 Depth=1
                                        ;     Parent Loop BB0_6 Depth=2
                                        ;       Parent Loop BB0_11 Depth=3
                                        ;         Parent Loop BB0_43 Depth=4
                                        ;           Parent Loop BB0_75 Depth=5
                                        ; =>          This Inner Loop Header: Depth=6
	s_waitcnt lgkmcnt(0)
	s_add_u32 vcc_lo, s58, 0xc0
	s_addc_u32 vcc_hi, s59, 0
	v_pk_mov_b32 v[6:7], vcc, vcc op_sel:[0,1]
	v_cmp_le_u64_e32 vcc, s[22:23], v[6:7]
	s_cbranch_vccz .LBB0_178
	s_branch .LBB0_181
.LBB0_180:                              ;   in Loop: Header=BB0_181 Depth=6
	s_sleep 7
	s_memrealtime s[58:59]
.LBB0_181:                              ;   Parent Loop BB0_3 Depth=1
                                        ;     Parent Loop BB0_6 Depth=2
                                        ;       Parent Loop BB0_11 Depth=3
                                        ;         Parent Loop BB0_43 Depth=4
                                        ;           Parent Loop BB0_75 Depth=5
                                        ; =>          This Inner Loop Header: Depth=6
	s_waitcnt lgkmcnt(0)
	s_add_u32 vcc_lo, s58, 0x59
	s_addc_u32 vcc_hi, s59, 0
	v_pk_mov_b32 v[6:7], vcc, vcc op_sel:[0,1]
	v_cmp_le_u64_e32 vcc, s[22:23], v[6:7]
	s_cbranch_vccz .LBB0_180
	;; [unrolled: 16-line block ×3, first 2 shown]
; %bb.184:                              ;   in Loop: Header=BB0_75 Depth=5
	v_pk_mov_b32 v[6:7], s[58:59], s[58:59] op_sel:[0,1]
	v_cmp_le_u64_e32 vcc, s[22:23], v[6:7]
	s_cbranch_vccnz .LBB0_186
.LBB0_185:                              ;   Parent Loop BB0_3 Depth=1
                                        ;     Parent Loop BB0_6 Depth=2
                                        ;       Parent Loop BB0_11 Depth=3
                                        ;         Parent Loop BB0_43 Depth=4
                                        ;           Parent Loop BB0_75 Depth=5
                                        ; =>          This Inner Loop Header: Depth=6
	s_sleep 1
	s_memrealtime vcc
	s_waitcnt lgkmcnt(0)
	v_pk_mov_b32 v[6:7], vcc, vcc op_sel:[0,1]
	v_cmp_gt_u64_e32 vcc, s[22:23], v[6:7]
	s_cbranch_vccnz .LBB0_185
.LBB0_186:                              ;   in Loop: Header=BB0_75 Depth=5
	s_or_b64 exec, exec, s[18:19]
	s_cmp_lg_u32 s20, 2
	s_cselect_b64 s[18:19], -1, 0
	v_cndmask_b32_e64 v6, 0, 1, s[18:19]
	v_readfirstlane_b32 s20, v6
	s_mov_b64 s[58:59], s[20:21]
.LBB0_187:                              ;   in Loop: Header=BB0_75 Depth=5
	s_mov_b64 s[22:23], 0
	s_branch .LBB0_190
.LBB0_188:                              ;   in Loop: Header=BB0_75 Depth=5
	s_mov_b64 s[22:23], 0
	s_mov_b64 s[58:59], 0
	s_branch .LBB0_198
.LBB0_189:                              ;   in Loop: Header=BB0_75 Depth=5
                                        ; implicit-def: $sgpr22_sgpr23
.LBB0_190:                              ;   in Loop: Header=BB0_75 Depth=5
	s_and_b64 vcc, exec, s[16:17]
	s_cbranch_vccz .LBB0_198
; %bb.191:                              ;   in Loop: Header=BB0_75 Depth=5
	v_mov_b32_e32 v6, 1
	v_mov_b32_e32 v7, 0
	s_and_saveexec_b64 s[16:17], s[14:15]
	s_cbranch_execz .LBB0_195
; %bb.192:                              ;   in Loop: Header=BB0_75 Depth=5
	global_load_dwordx2 v[28:29], v[54:55], off glc
	s_memrealtime s[22:23]
	s_waitcnt lgkmcnt(0)
	v_mov_b32_e32 v7, s23
	s_waitcnt vmcnt(0)
	v_sub_co_u32_e32 v6, vcc, s22, v28
	v_subb_co_u32_e32 v7, vcc, v7, v29, vcc
	v_cmp_lt_u64_e32 vcc, s[44:45], v[6:7]
	v_mov_b32_e32 v6, 1
	v_mov_b32_e32 v7, 0
	s_and_saveexec_b64 s[18:19], vcc
	s_cbranch_execz .LBB0_194
; %bb.193:                              ;   in Loop: Header=BB0_75 Depth=5
	v_mov_b32_e32 v26, s22
	v_mov_b32_e32 v27, s23
	global_atomic_cmpswap_x2 v[6:7], v[54:55], v[26:29], off glc
	s_waitcnt vmcnt(0)
	v_cmp_ne_u64_e32 vcc, v[6:7], v[28:29]
	v_cndmask_b32_e64 v6, 0, 1, vcc
	v_mov_b32_e32 v7, s21
.LBB0_194:                              ;   in Loop: Header=BB0_75 Depth=5
	s_or_b64 exec, exec, s[18:19]
.LBB0_195:                              ;   in Loop: Header=BB0_75 Depth=5
	s_or_b64 exec, exec, s[16:17]
	v_readfirstlane_b32 s16, v6
	v_readfirstlane_b32 s17, v7
	s_cmp_lg_u64 s[16:17], 0
	s_cbranch_scc0 .LBB0_199
.LBB0_196:                              ;   in Loop: Header=BB0_75 Depth=5
	s_mov_b64 s[22:23], 0
.LBB0_197:                              ;   in Loop: Header=BB0_75 Depth=5
	s_mov_b64 s[58:59], s[16:17]
.LBB0_198:                              ;   in Loop: Header=BB0_75 Depth=5
	s_xor_b64 s[16:17], s[22:23], -1
	s_andn2_b64 vcc, exec, s[16:17]
	s_cbranch_vccnz .LBB0_75
	s_branch .LBB0_308
.LBB0_199:                              ;   in Loop: Header=BB0_75 Depth=5
	v_pk_mov_b32 v[6:7], 0, 0
	s_and_saveexec_b64 s[18:19], s[14:15]
	s_cbranch_execz .LBB0_235
; %bb.200:                              ;   in Loop: Header=BB0_75 Depth=5
	global_load_dwordx2 v[6:7], v8, s[34:35] glc
	global_load_dwordx2 v[10:11], v8, s[36:37]
	s_waitcnt vmcnt(0)
	v_cmp_ge_u64_e32 vcc, v[6:7], v[10:11]
	s_cbranch_vccnz .LBB0_204
; %bb.201:                              ;   in Loop: Header=BB0_75 Depth=5
	s_mov_b64 s[22:23], exec
	v_mbcnt_lo_u32_b32 v6, s22, 0
	v_mbcnt_hi_u32_b32 v9, s23, v6
	v_cmp_eq_u32_e32 vcc, 0, v9
                                        ; implicit-def: $vgpr6_vgpr7
	s_and_saveexec_b64 s[16:17], vcc
	s_cbranch_execz .LBB0_203
; %bb.202:                              ;   in Loop: Header=BB0_75 Depth=5
	s_bcnt1_i32_b64 s20, s[22:23]
	s_lshl_b32 s20, s20, 21
	v_mov_b32_e32 v6, s20
	v_mov_b32_e32 v7, v8
	global_atomic_add_x2 v[6:7], v8, v[6:7], s[34:35] glc
.LBB0_203:                              ;   in Loop: Header=BB0_75 Depth=5
	s_or_b64 exec, exec, s[16:17]
	s_waitcnt vmcnt(0)
	v_readfirstlane_b32 s16, v7
	v_readfirstlane_b32 s17, v6
	v_mov_b32_e32 v6, s17
	v_mov_b32_e32 v7, s16
	v_mad_u64_u32 v[6:7], s[16:17], v9, s86, v[6:7]
	v_cmp_ge_u64_e64 s[16:17], v[6:7], v[10:11]
	s_branch .LBB0_205
.LBB0_204:                              ;   in Loop: Header=BB0_75 Depth=5
	s_mov_b64 s[16:17], -1
                                        ; implicit-def: $vgpr6_vgpr7
.LBB0_205:                              ;   in Loop: Header=BB0_75 Depth=5
	s_and_saveexec_b64 s[60:61], s[16:17]
	s_cbranch_execz .LBB0_234
; %bb.206:                              ;   in Loop: Header=BB0_75 Depth=5
	s_load_dwordx2 s[62:63], s[8:9], 0x50
	v_readfirstlane_b32 s16, v32
	v_cmp_eq_u32_e64 s[16:17], s16, v32
	v_pk_mov_b32 v[6:7], 0, 0
	s_and_saveexec_b64 s[22:23], s[16:17]
	s_cbranch_execz .LBB0_212
; %bb.207:                              ;   in Loop: Header=BB0_75 Depth=5
	s_waitcnt lgkmcnt(0)
	global_load_dwordx2 v[28:29], v8, s[62:63] offset:24 glc
	s_waitcnt vmcnt(0)
	buffer_invl2
	buffer_wbinvl1_vol
	global_load_dwordx2 v[6:7], v8, s[62:63] offset:40
	global_load_dwordx2 v[10:11], v8, s[62:63]
	s_waitcnt vmcnt(1)
	v_and_b32_e32 v6, v6, v28
	v_and_b32_e32 v7, v7, v29
	v_mul_lo_u32 v7, v7, 24
	v_mul_hi_u32 v9, v6, 24
	v_mul_lo_u32 v6, v6, 24
	v_add_u32_e32 v7, v9, v7
	s_waitcnt vmcnt(0)
	v_add_co_u32_e32 v6, vcc, v10, v6
	v_addc_co_u32_e32 v7, vcc, v11, v7, vcc
	global_load_dwordx2 v[26:27], v[6:7], off glc
	s_waitcnt vmcnt(0)
	global_atomic_cmpswap_x2 v[6:7], v8, v[26:29], s[62:63] offset:24 glc
	s_waitcnt vmcnt(0)
	buffer_invl2
	buffer_wbinvl1_vol
	v_cmp_ne_u64_e32 vcc, v[6:7], v[28:29]
	s_and_saveexec_b64 s[64:65], vcc
	s_cbranch_execz .LBB0_211
; %bb.208:                              ;   in Loop: Header=BB0_75 Depth=5
	s_mov_b64 s[66:67], 0
.LBB0_209:                              ;   Parent Loop BB0_3 Depth=1
                                        ;     Parent Loop BB0_6 Depth=2
                                        ;       Parent Loop BB0_11 Depth=3
                                        ;         Parent Loop BB0_43 Depth=4
                                        ;           Parent Loop BB0_75 Depth=5
                                        ; =>          This Inner Loop Header: Depth=6
	s_sleep 1
	global_load_dwordx2 v[10:11], v8, s[62:63] offset:40
	global_load_dwordx2 v[14:15], v8, s[62:63]
	v_pk_mov_b32 v[28:29], v[6:7], v[6:7] op_sel:[0,1]
	s_waitcnt vmcnt(1)
	v_and_b32_e32 v6, v10, v28
	s_waitcnt vmcnt(0)
	v_mad_u64_u32 v[6:7], vcc, v6, 24, v[14:15]
	v_and_b32_e32 v9, v11, v29
	v_mov_b32_e32 v10, v7
	v_mad_u64_u32 v[10:11], vcc, v9, 24, v[10:11]
	v_mov_b32_e32 v7, v10
	global_load_dwordx2 v[26:27], v[6:7], off glc
	s_waitcnt vmcnt(0)
	global_atomic_cmpswap_x2 v[6:7], v8, v[26:29], s[62:63] offset:24 glc
	s_waitcnt vmcnt(0)
	buffer_invl2
	buffer_wbinvl1_vol
	v_cmp_eq_u64_e32 vcc, v[6:7], v[28:29]
	s_or_b64 s[66:67], vcc, s[66:67]
	s_andn2_b64 exec, exec, s[66:67]
	s_cbranch_execnz .LBB0_209
; %bb.210:                              ;   in Loop: Header=BB0_75 Depth=5
	s_or_b64 exec, exec, s[66:67]
.LBB0_211:                              ;   in Loop: Header=BB0_75 Depth=5
	s_or_b64 exec, exec, s[64:65]
.LBB0_212:                              ;   in Loop: Header=BB0_75 Depth=5
	s_or_b64 exec, exec, s[22:23]
	s_waitcnt lgkmcnt(0)
	global_load_dwordx2 v[10:11], v8, s[62:63] offset:40
	global_load_dwordx4 v[26:29], v8, s[62:63]
	v_readfirstlane_b32 s64, v6
	v_readfirstlane_b32 s65, v7
	s_mov_b64 s[22:23], exec
	s_waitcnt vmcnt(1)
	v_readfirstlane_b32 vcc_lo, v10
	v_readfirstlane_b32 vcc_hi, v11
	s_and_b64 s[66:67], s[64:65], vcc
	s_mul_i32 s20, s67, 24
	s_mul_hi_u32 vcc_lo, s66, 24
	s_mul_i32 vcc_hi, s66, 24
	s_add_i32 s20, vcc_lo, s20
	v_mov_b32_e32 v7, s20
	s_waitcnt vmcnt(0)
	v_add_co_u32_e32 v6, vcc, vcc_hi, v26
	v_addc_co_u32_e32 v7, vcc, v27, v7, vcc
	s_and_saveexec_b64 vcc, s[16:17]
	s_cbranch_execz .LBB0_214
; %bb.213:                              ;   in Loop: Header=BB0_75 Depth=5
	v_pk_mov_b32 v[10:11], s[22:23], s[22:23] op_sel:[0,1]
	global_store_dwordx4 v[6:7], v[10:13], off offset:8
.LBB0_214:                              ;   in Loop: Header=BB0_75 Depth=5
	s_or_b64 exec, exec, vcc
	s_lshl_b64 s[22:23], s[66:67], 12
	v_mov_b32_e32 v9, s23
	v_add_co_u32_e32 v10, vcc, s22, v28
	s_mov_b32 s22, s21
	s_mov_b32 s23, s21
	v_addc_co_u32_e32 v9, vcc, v29, v9, vcc
	s_mov_b32 s20, s21
	v_pk_mov_b32 v[50:51], s[22:23], s[22:23] op_sel:[0,1]
	v_lshlrev_b32_e32 v11, 6, v32
	v_mov_b32_e32 v18, v8
	v_mov_b32_e32 v19, v8
	;; [unrolled: 1-line block ×3, first 2 shown]
	v_readfirstlane_b32 s66, v10
	v_readfirstlane_b32 s67, v9
	v_pk_mov_b32 v[48:49], s[20:21], s[20:21] op_sel:[0,1]
	s_nop 3
	global_store_dwordx4 v11, v[18:21], s[66:67]
	global_store_dwordx4 v11, v[48:51], s[66:67] offset:16
	global_store_dwordx4 v11, v[48:51], s[66:67] offset:32
	;; [unrolled: 1-line block ×3, first 2 shown]
	s_and_saveexec_b64 s[22:23], s[16:17]
	s_cbranch_execz .LBB0_222
; %bb.215:                              ;   in Loop: Header=BB0_75 Depth=5
	global_load_dwordx2 v[50:51], v8, s[62:63] offset:32 glc
	global_load_dwordx2 v[14:15], v8, s[62:63] offset:40
	v_mov_b32_e32 v48, s64
	v_mov_b32_e32 v49, s65
	s_waitcnt vmcnt(0)
	v_and_b32_e32 v14, s64, v14
	v_and_b32_e32 v15, s65, v15
	v_mul_lo_u32 v15, v15, 24
	v_mul_hi_u32 v17, v14, 24
	v_mul_lo_u32 v14, v14, 24
	v_add_u32_e32 v15, v17, v15
	v_add_co_u32_e32 v14, vcc, v26, v14
	v_addc_co_u32_e32 v15, vcc, v27, v15, vcc
	global_store_dwordx2 v[14:15], v[50:51], off
	buffer_wbl2
	s_waitcnt vmcnt(0)
	global_atomic_cmpswap_x2 v[28:29], v8, v[48:51], s[62:63] offset:32 glc
	s_waitcnt vmcnt(0)
	v_cmp_ne_u64_e32 vcc, v[28:29], v[50:51]
	s_and_saveexec_b64 s[66:67], vcc
	s_cbranch_execz .LBB0_218
; %bb.216:                              ;   in Loop: Header=BB0_75 Depth=5
	s_mov_b64 s[68:69], 0
.LBB0_217:                              ;   Parent Loop BB0_3 Depth=1
                                        ;     Parent Loop BB0_6 Depth=2
                                        ;       Parent Loop BB0_11 Depth=3
                                        ;         Parent Loop BB0_43 Depth=4
                                        ;           Parent Loop BB0_75 Depth=5
                                        ; =>          This Inner Loop Header: Depth=6
	s_sleep 1
	global_store_dwordx2 v[14:15], v[28:29], off
	v_mov_b32_e32 v26, s64
	v_mov_b32_e32 v27, s65
	buffer_wbl2
	s_waitcnt vmcnt(0)
	global_atomic_cmpswap_x2 v[18:19], v8, v[26:29], s[62:63] offset:32 glc
	s_waitcnt vmcnt(0)
	v_cmp_eq_u64_e32 vcc, v[18:19], v[28:29]
	s_or_b64 s[68:69], vcc, s[68:69]
	v_pk_mov_b32 v[28:29], v[18:19], v[18:19] op_sel:[0,1]
	s_andn2_b64 exec, exec, s[68:69]
	s_cbranch_execnz .LBB0_217
.LBB0_218:                              ;   in Loop: Header=BB0_75 Depth=5
	s_or_b64 exec, exec, s[66:67]
	global_load_dwordx2 v[14:15], v8, s[62:63] offset:16
	s_mov_b64 s[68:69], exec
	v_mbcnt_lo_u32_b32 v17, s68, 0
	v_mbcnt_hi_u32_b32 v17, s69, v17
	v_cmp_eq_u32_e32 vcc, 0, v17
	s_and_saveexec_b64 s[66:67], vcc
	s_cbranch_execz .LBB0_220
; %bb.219:                              ;   in Loop: Header=BB0_75 Depth=5
	s_bcnt1_i32_b64 s20, s[68:69]
	v_mov_b32_e32 v18, s20
	v_mov_b32_e32 v19, v8
	buffer_wbl2
	s_waitcnt vmcnt(0)
	global_atomic_add_x2 v[14:15], v[18:19], off offset:8
.LBB0_220:                              ;   in Loop: Header=BB0_75 Depth=5
	s_or_b64 exec, exec, s[66:67]
	s_waitcnt vmcnt(0)
	global_load_dwordx2 v[18:19], v[14:15], off offset:16
	s_waitcnt vmcnt(0)
	v_cmp_eq_u64_e32 vcc, 0, v[18:19]
	s_cbranch_vccnz .LBB0_222
; %bb.221:                              ;   in Loop: Header=BB0_75 Depth=5
	global_load_dword v14, v[14:15], off offset:24
	v_mov_b32_e32 v15, v8
	buffer_wbl2
	s_waitcnt vmcnt(0)
	global_store_dwordx2 v[18:19], v[14:15], off
	v_and_b32_e32 v14, 0xffffff, v14
	v_readfirstlane_b32 m0, v14
	s_sendmsg sendmsg(MSG_INTERRUPT)
.LBB0_222:                              ;   in Loop: Header=BB0_75 Depth=5
	s_or_b64 exec, exec, s[22:23]
	v_add_co_u32_e32 v10, vcc, v10, v11
	v_addc_co_u32_e32 v11, vcc, 0, v9, vcc
.LBB0_223:                              ;   Parent Loop BB0_3 Depth=1
                                        ;     Parent Loop BB0_6 Depth=2
                                        ;       Parent Loop BB0_11 Depth=3
                                        ;         Parent Loop BB0_43 Depth=4
                                        ;           Parent Loop BB0_75 Depth=5
                                        ; =>          This Inner Loop Header: Depth=6
	v_mov_b32_e32 v9, 1
	s_and_saveexec_b64 s[22:23], s[16:17]
	s_cbranch_execz .LBB0_225
; %bb.224:                              ;   in Loop: Header=BB0_223 Depth=6
	global_load_dword v9, v[6:7], off offset:20 glc
	s_waitcnt vmcnt(0)
	buffer_invl2
	buffer_wbinvl1_vol
	v_and_b32_e32 v9, 1, v9
.LBB0_225:                              ;   in Loop: Header=BB0_223 Depth=6
	s_or_b64 exec, exec, s[22:23]
	v_readfirstlane_b32 s20, v9
	s_cmp_eq_u32 s20, 0
	s_cbranch_scc1 .LBB0_227
; %bb.226:                              ;   in Loop: Header=BB0_223 Depth=6
	s_mov_b64 s[22:23], 0
	s_sleep 1
	s_branch .LBB0_228
.LBB0_227:                              ;   in Loop: Header=BB0_223 Depth=6
	s_mov_b64 s[22:23], -1
.LBB0_228:                              ;   in Loop: Header=BB0_223 Depth=6
	s_andn2_b64 vcc, exec, s[22:23]
	s_cbranch_vccnz .LBB0_223
; %bb.229:                              ;   in Loop: Header=BB0_75 Depth=5
	global_load_dwordx2 v[6:7], v[10:11], off
	s_and_saveexec_b64 s[22:23], s[16:17]
	s_cbranch_execz .LBB0_233
; %bb.230:                              ;   in Loop: Header=BB0_75 Depth=5
	global_load_dwordx2 v[10:11], v8, s[62:63] offset:40
	global_load_dwordx2 v[14:15], v8, s[62:63] offset:24 glc
	global_load_dwordx2 v[18:19], v8, s[62:63]
	v_mov_b32_e32 v9, s65
	s_waitcnt vmcnt(2)
	v_add_co_u32_e32 v17, vcc, 1, v10
	v_addc_co_u32_e32 v21, vcc, 0, v11, vcc
	v_add_co_u32_e32 v26, vcc, s64, v17
	v_addc_co_u32_e32 v27, vcc, v21, v9, vcc
	v_cmp_eq_u64_e32 vcc, 0, v[26:27]
	v_cndmask_b32_e32 v27, v27, v21, vcc
	v_cndmask_b32_e32 v26, v26, v17, vcc
	v_and_b32_e32 v9, v27, v11
	v_and_b32_e32 v10, v26, v10
	v_mul_lo_u32 v9, v9, 24
	v_mul_hi_u32 v11, v10, 24
	v_mul_lo_u32 v10, v10, 24
	v_add_u32_e32 v9, v11, v9
	s_waitcnt vmcnt(0)
	v_add_co_u32_e32 v10, vcc, v18, v10
	v_addc_co_u32_e32 v11, vcc, v19, v9, vcc
	v_mov_b32_e32 v28, v14
	global_store_dwordx2 v[10:11], v[14:15], off
	v_mov_b32_e32 v29, v15
	buffer_wbl2
	s_waitcnt vmcnt(0)
	global_atomic_cmpswap_x2 v[28:29], v8, v[26:29], s[62:63] offset:24 glc
	s_waitcnt vmcnt(0)
	v_cmp_ne_u64_e32 vcc, v[28:29], v[14:15]
	s_and_b64 exec, exec, vcc
	s_cbranch_execz .LBB0_233
; %bb.231:                              ;   in Loop: Header=BB0_75 Depth=5
	s_mov_b64 s[16:17], 0
.LBB0_232:                              ;   Parent Loop BB0_3 Depth=1
                                        ;     Parent Loop BB0_6 Depth=2
                                        ;       Parent Loop BB0_11 Depth=3
                                        ;         Parent Loop BB0_43 Depth=4
                                        ;           Parent Loop BB0_75 Depth=5
                                        ; =>          This Inner Loop Header: Depth=6
	s_sleep 1
	global_store_dwordx2 v[10:11], v[28:29], off
	buffer_wbl2
	s_waitcnt vmcnt(0)
	global_atomic_cmpswap_x2 v[14:15], v8, v[26:29], s[62:63] offset:24 glc
	s_waitcnt vmcnt(0)
	v_cmp_eq_u64_e32 vcc, v[14:15], v[28:29]
	s_or_b64 s[16:17], vcc, s[16:17]
	v_pk_mov_b32 v[28:29], v[14:15], v[14:15] op_sel:[0,1]
	s_andn2_b64 exec, exec, s[16:17]
	s_cbranch_execnz .LBB0_232
.LBB0_233:                              ;   in Loop: Header=BB0_75 Depth=5
	s_or_b64 exec, exec, s[22:23]
.LBB0_234:                              ;   in Loop: Header=BB0_75 Depth=5
	s_or_b64 exec, exec, s[60:61]
.LBB0_235:                              ;   in Loop: Header=BB0_75 Depth=5
	s_or_b64 exec, exec, s[18:19]
	s_waitcnt vmcnt(0)
	v_readfirstlane_b32 s18, v6
	v_readfirstlane_b32 s19, v7
	s_cmp_eq_u64 s[18:19], 0
	s_mov_b64 s[16:17], 0
	s_cbranch_scc1 .LBB0_196
; %bb.236:                              ;   in Loop: Header=BB0_75 Depth=5
	global_load_dword v10, v[46:47], off
	v_mbcnt_lo_u32_b32 v6, exec_lo, 0
	v_mbcnt_hi_u32_b32 v11, exec_hi, v6
	s_bcnt1_i32_b64 s20, exec
	s_waitcnt vmcnt(0)
	v_add_u32_e32 v6, 31, v10
	v_lshrrev_b32_e32 v9, 5, v6
	s_and_saveexec_b64 s[16:17], s[12:13]
	s_xor_b64 s[22:23], exec, s[16:17]
	s_cbranch_execz .LBB0_244
; %bb.237:                              ;   in Loop: Header=BB0_75 Depth=5
	global_load_dword v14, v[0:1], off
	v_cmp_lt_u32_e32 vcc, v11, v9
	s_and_saveexec_b64 s[60:61], vcc
	s_cbranch_execz .LBB0_240
; %bb.238:                              ;   in Loop: Header=BB0_75 Depth=5
	s_add_u32 s16, s18, 16
	s_addc_u32 s17, s19, 0
	v_lshlrev_b32_e32 v6, 2, v11
	v_mov_b32_e32 v7, s17
	v_add_co_u32_e32 v6, vcc, s16, v6
	v_addc_co_u32_e32 v7, vcc, 0, v7, vcc
	s_lshl_b32 s64, s20, 2
	s_mov_b64 s[62:63], 0
	v_mov_b32_e32 v15, v11
.LBB0_239:                              ;   Parent Loop BB0_3 Depth=1
                                        ;     Parent Loop BB0_6 Depth=2
                                        ;       Parent Loop BB0_11 Depth=3
                                        ;         Parent Loop BB0_43 Depth=4
                                        ;           Parent Loop BB0_75 Depth=5
                                        ; =>          This Inner Loop Header: Depth=6
	v_add_u32_e32 v15, s20, v15
	global_store_dword v[6:7], v8, off
	v_mov_b32_e32 v17, s21
	v_add_co_u32_e32 v6, vcc, s64, v6
	v_cmp_ge_u32_e64 s[16:17], v15, v9
	s_or_b64 s[62:63], s[16:17], s[62:63]
	v_addc_co_u32_e32 v7, vcc, v7, v17, vcc
	s_andn2_b64 exec, exec, s[62:63]
	s_cbranch_execnz .LBB0_239
.LBB0_240:                              ;   in Loop: Header=BB0_75 Depth=5
	s_or_b64 exec, exec, s[60:61]
	global_load_dword v6, v[52:53], off
	s_waitcnt vmcnt(0)
	v_mad_u64_u32 v[6:7], s[16:17], v14, v11, v[6:7]
	v_cmp_lt_u32_e32 vcc, v6, v10
	s_and_saveexec_b64 s[16:17], vcc
	s_cbranch_execz .LBB0_243
; %bb.241:                              ;   in Loop: Header=BB0_75 Depth=5
	s_add_u32 s60, s18, 16
	v_mul_lo_u32 v7, v14, s20
	s_addc_u32 s61, s19, 0
	s_mov_b64 s[62:63], 0
.LBB0_242:                              ;   Parent Loop BB0_3 Depth=1
                                        ;     Parent Loop BB0_6 Depth=2
                                        ;       Parent Loop BB0_11 Depth=3
                                        ;         Parent Loop BB0_43 Depth=4
                                        ;           Parent Loop BB0_75 Depth=5
                                        ; =>          This Inner Loop Header: Depth=6
	v_lshlrev_b32_e64 v14, v6, 1
	v_lshrrev_b32_e32 v15, 3, v6
	v_add_u32_e32 v6, v6, v7
	v_cmp_ge_u32_e32 vcc, v6, v10
	v_and_b32_e32 v15, 0x1ffffffc, v15
	s_or_b64 s[62:63], vcc, s[62:63]
	global_store_dword v15, v14, s[60:61]
	s_andn2_b64 exec, exec, s[62:63]
	s_cbranch_execnz .LBB0_242
.LBB0_243:                              ;   in Loop: Header=BB0_75 Depth=5
	s_or_b64 exec, exec, s[16:17]
.LBB0_244:                              ;   in Loop: Header=BB0_75 Depth=5
	s_andn2_saveexec_b64 s[22:23], s[22:23]
	s_cbranch_execz .LBB0_249
; %bb.245:                              ;   in Loop: Header=BB0_75 Depth=5
	v_cmp_lt_u32_e32 vcc, v11, v9
	s_and_saveexec_b64 s[60:61], vcc
	s_cbranch_execz .LBB0_248
; %bb.246:                              ;   in Loop: Header=BB0_75 Depth=5
	v_accvgpr_read_b32 v6, a18
	v_accvgpr_read_b32 v7, a19
	global_load_dword v14, v[6:7], off
	s_add_u32 s16, s18, 16
	s_addc_u32 s17, s19, 0
	v_lshlrev_b32_e32 v6, 2, v11
	v_mov_b32_e32 v7, s17
	v_add_co_u32_e32 v6, vcc, s16, v6
	v_addc_co_u32_e32 v7, vcc, 0, v7, vcc
	s_lshl_b32 s64, s20, 2
	s_mov_b64 s[62:63], 0
	v_mov_b32_e32 v15, v11
	s_waitcnt vmcnt(0)
.LBB0_247:                              ;   Parent Loop BB0_3 Depth=1
                                        ;     Parent Loop BB0_6 Depth=2
                                        ;       Parent Loop BB0_11 Depth=3
                                        ;         Parent Loop BB0_43 Depth=4
                                        ;           Parent Loop BB0_75 Depth=5
                                        ; =>          This Inner Loop Header: Depth=6
	v_add_u32_e32 v15, s20, v15
	global_store_dword v[6:7], v14, off
	v_mov_b32_e32 v17, s21
	v_add_co_u32_e32 v6, vcc, s64, v6
	v_cmp_ge_u32_e64 s[16:17], v15, v9
	s_or_b64 s[62:63], s[16:17], s[62:63]
	v_addc_co_u32_e32 v7, vcc, v7, v17, vcc
	s_andn2_b64 exec, exec, s[62:63]
	s_cbranch_execnz .LBB0_247
.LBB0_248:                              ;   in Loop: Header=BB0_75 Depth=5
	s_or_b64 exec, exec, s[60:61]
.LBB0_249:                              ;   in Loop: Header=BB0_75 Depth=5
	s_or_b64 exec, exec, s[22:23]
	v_cmp_eq_u32_e32 vcc, 0, v11
	s_and_saveexec_b64 s[16:17], vcc
	s_cbranch_execz .LBB0_253
; %bb.250:                              ;   in Loop: Header=BB0_75 Depth=5
	v_and_b32_e32 v6, 31, v10
	v_cmp_ne_u32_e32 vcc, 0, v6
	s_and_saveexec_b64 s[22:23], vcc
	s_cbranch_execz .LBB0_252
; %bb.251:                              ;   in Loop: Header=BB0_75 Depth=5
	v_add_u32_e32 v10, -1, v9
	v_mov_b32_e32 v11, v8
	v_lshlrev_b64 v[10:11], 2, v[10:11]
	v_mov_b32_e32 v7, s19
	v_add_co_u32_e32 v10, vcc, s18, v10
	v_addc_co_u32_e32 v11, vcc, v7, v11, vcc
	global_load_dword v7, v[10:11], off offset:16
	s_waitcnt vmcnt(0)
	v_lshl_or_b32 v6, -1, v6, v7
	global_store_dword v[10:11], v6, off offset:16
.LBB0_252:                              ;   in Loop: Header=BB0_75 Depth=5
	s_or_b64 exec, exec, s[22:23]
	global_store_dwordx4 v8, v[22:25], s[18:19]
.LBB0_253:                              ;   in Loop: Header=BB0_75 Depth=5
	s_or_b64 exec, exec, s[16:17]
.LBB0_254:                              ;   Parent Loop BB0_3 Depth=1
                                        ;     Parent Loop BB0_6 Depth=2
                                        ;       Parent Loop BB0_11 Depth=3
                                        ;         Parent Loop BB0_43 Depth=4
                                        ;           Parent Loop BB0_75 Depth=5
                                        ; =>          This Inner Loop Header: Depth=6
	v_mov_b32_e32 v6, s91
	s_and_saveexec_b64 s[16:17], s[14:15]
	s_cbranch_execz .LBB0_256
; %bb.255:                              ;   in Loop: Header=BB0_254 Depth=6
	global_load_dword v6, v[56:57], off glc
.LBB0_256:                              ;   in Loop: Header=BB0_254 Depth=6
	s_or_b64 exec, exec, s[16:17]
	s_waitcnt vmcnt(0)
	v_readfirstlane_b32 s91, v6
	s_cmp_eq_u32 s91, 0x10100
	s_cbranch_scc1 .LBB0_263
; %bb.257:                              ;   in Loop: Header=BB0_254 Depth=6
	v_mov_b32_e32 v6, s92
	s_and_saveexec_b64 s[16:17], s[14:15]
	s_cbranch_execz .LBB0_259
; %bb.258:                              ;   in Loop: Header=BB0_254 Depth=6
	global_load_dword v6, v[58:59], off glc
.LBB0_259:                              ;   in Loop: Header=BB0_254 Depth=6
	s_or_b64 exec, exec, s[16:17]
	s_waitcnt vmcnt(0)
	v_readfirstlane_b32 s92, v6
	s_mov_b64 s[22:23], -1
	s_cmp_lg_u32 s91, s92
	s_mov_b64 vcc, -1
                                        ; implicit-def: $sgpr16_sgpr17
	s_cbranch_scc0 .LBB0_273
; %bb.260:                              ;   in Loop: Header=BB0_254 Depth=6
	v_pk_mov_b32 v[6:7], 0, 0
	s_and_saveexec_b64 s[16:17], s[14:15]
	s_cbranch_execz .LBB0_270
; %bb.261:                              ;   in Loop: Header=BB0_254 Depth=6
	s_cmpk_lt_u32 s91, 0x100
	s_cbranch_scc0 .LBB0_264
; %bb.262:                              ;   in Loop: Header=BB0_254 Depth=6
	v_pk_mov_b32 v[6:7], s[30:31], s[30:31] op_sel:[0,1]
	v_mad_u64_u32 v[6:7], s[22:23], v22, s82, v[6:7]
	v_mad_u64_u32 v[10:11], s[22:23], s91, 24, v[6:7]
	s_mov_b64 s[22:23], 0
	s_branch .LBB0_265
.LBB0_263:                              ;   in Loop: Header=BB0_254 Depth=6
	s_mov_b64 s[16:17], 0
	s_mov_b64 s[60:61], -1
	s_mov_b64 s[22:23], 0
                                        ; implicit-def: $sgpr91
                                        ; implicit-def: $sgpr92
	s_mov_b64 vcc, -1
	s_branch .LBB0_274
.LBB0_264:                              ;   in Loop: Header=BB0_254 Depth=6
                                        ; implicit-def: $vgpr10_vgpr11
.LBB0_265:                              ;   in Loop: Header=BB0_254 Depth=6
	s_andn2_b64 vcc, exec, s[22:23]
	s_cbranch_vccnz .LBB0_267
; %bb.266:                              ;   in Loop: Header=BB0_254 Depth=6
	s_add_i32 s20, s91, 0xffffff00
	v_pk_mov_b32 v[6:7], s[30:31], s[30:31] op_sel:[0,1]
	s_lshr_b32 s20, s20, 8
	v_mad_u64_u32 v[6:7], s[22:23], v22, s82, v[6:7]
	v_mad_u64_u32 v[6:7], s[22:23], s20, 24, v[6:7]
	global_load_dwordx2 v[6:7], v[6:7], off glc
	s_and_b32 s20, s91, 0xff
	s_waitcnt vmcnt(0)
	v_mad_u64_u32 v[10:11], s[22:23], s20, 24, v[6:7]
.LBB0_267:                              ;   in Loop: Header=BB0_254 Depth=6
	v_mov_b32_e32 v6, s91
	global_store_dword v8, v6, s[18:19] offset:4
	v_mov_b32_e32 v6, s18
	v_mov_b32_e32 v7, s19
	;; [unrolled: 1-line block ×3, first 2 shown]
	global_atomic_cmpswap_x2 v[6:7], v[10:11], v[6:9], off offset:8 glc
	s_waitcnt vmcnt(0)
	v_cmp_eq_u64_e32 vcc, 0, v[6:7]
	v_pk_mov_b32 v[6:7], 0, 0
	s_and_saveexec_b64 s[22:23], vcc
	s_cbranch_execz .LBB0_269
; %bb.268:                              ;   in Loop: Header=BB0_254 Depth=6
	global_atomic_add v[56:57], v62, off
	v_pk_mov_b32 v[6:7], v[10:11], v[10:11] op_sel:[0,1]
.LBB0_269:                              ;   in Loop: Header=BB0_254 Depth=6
	s_or_b64 exec, exec, s[22:23]
.LBB0_270:                              ;   in Loop: Header=BB0_254 Depth=6
	s_or_b64 exec, exec, s[16:17]
	v_readfirstlane_b32 s16, v6
	v_readfirstlane_b32 s17, v7
	s_cmp_lg_u64 s[16:17], 0
	s_mov_b64 vcc, -1
	s_cbranch_scc1 .LBB0_272
; %bb.271:                              ;   in Loop: Header=BB0_254 Depth=6
	s_mov_b64 vcc, 0
	s_sleep 2
.LBB0_272:                              ;   in Loop: Header=BB0_254 Depth=6
	s_mov_b64 s[22:23], 0
.LBB0_273:                              ;   in Loop: Header=BB0_254 Depth=6
	s_mov_b64 s[60:61], 0
.LBB0_274:                              ;   in Loop: Header=BB0_254 Depth=6
	s_and_b64 vcc, exec, vcc
	s_cbranch_vccz .LBB0_254
; %bb.275:                              ;   in Loop: Header=BB0_75 Depth=5
	s_and_b64 vcc, exec, s[60:61]
	s_cbranch_vccnz .LBB0_197
; %bb.276:                              ;   in Loop: Header=BB0_75 Depth=5
	s_xor_b64 vcc, s[22:23], -1
	s_mov_b64 s[22:23], -1
	s_and_b64 vcc, exec, vcc
	s_cbranch_vccz .LBB0_278
; %bb.277:                              ;   in Loop: Header=BB0_75 Depth=5
	s_mov_b64 s[22:23], 0
.LBB0_278:                              ;   in Loop: Header=BB0_75 Depth=5
	s_andn2_b64 vcc, exec, s[22:23]
	s_cbranch_vccnz .LBB0_197
; %bb.279:                              ;   in Loop: Header=BB0_75 Depth=5
	s_and_saveexec_b64 s[60:61], s[14:15]
	s_cbranch_execz .LBB0_307
; %bb.280:                              ;   in Loop: Header=BB0_75 Depth=5
	s_load_dwordx2 s[62:63], s[8:9], 0x50
	v_readfirstlane_b32 s16, v32
	v_cmp_eq_u32_e64 s[16:17], s16, v32
	v_pk_mov_b32 v[6:7], 0, 0
	s_and_saveexec_b64 s[22:23], s[16:17]
	s_cbranch_execz .LBB0_286
; %bb.281:                              ;   in Loop: Header=BB0_75 Depth=5
	s_waitcnt lgkmcnt(0)
	global_load_dwordx2 v[28:29], v8, s[62:63] offset:24 glc
	s_waitcnt vmcnt(0)
	buffer_invl2
	buffer_wbinvl1_vol
	global_load_dwordx2 v[6:7], v8, s[62:63] offset:40
	global_load_dwordx2 v[10:11], v8, s[62:63]
	s_waitcnt vmcnt(1)
	v_and_b32_e32 v6, v6, v28
	v_and_b32_e32 v7, v7, v29
	v_mul_lo_u32 v7, v7, 24
	v_mul_hi_u32 v9, v6, 24
	v_mul_lo_u32 v6, v6, 24
	v_add_u32_e32 v7, v9, v7
	s_waitcnt vmcnt(0)
	v_add_co_u32_e32 v6, vcc, v10, v6
	v_addc_co_u32_e32 v7, vcc, v11, v7, vcc
	global_load_dwordx2 v[26:27], v[6:7], off glc
	s_waitcnt vmcnt(0)
	global_atomic_cmpswap_x2 v[6:7], v8, v[26:29], s[62:63] offset:24 glc
	s_waitcnt vmcnt(0)
	buffer_invl2
	buffer_wbinvl1_vol
	v_cmp_ne_u64_e32 vcc, v[6:7], v[28:29]
	s_and_saveexec_b64 s[64:65], vcc
	s_cbranch_execz .LBB0_285
; %bb.282:                              ;   in Loop: Header=BB0_75 Depth=5
	s_mov_b64 s[66:67], 0
.LBB0_283:                              ;   Parent Loop BB0_3 Depth=1
                                        ;     Parent Loop BB0_6 Depth=2
                                        ;       Parent Loop BB0_11 Depth=3
                                        ;         Parent Loop BB0_43 Depth=4
                                        ;           Parent Loop BB0_75 Depth=5
                                        ; =>          This Inner Loop Header: Depth=6
	s_sleep 1
	global_load_dwordx2 v[10:11], v8, s[62:63] offset:40
	global_load_dwordx2 v[14:15], v8, s[62:63]
	v_pk_mov_b32 v[28:29], v[6:7], v[6:7] op_sel:[0,1]
	s_waitcnt vmcnt(1)
	v_and_b32_e32 v6, v10, v28
	s_waitcnt vmcnt(0)
	v_mad_u64_u32 v[6:7], vcc, v6, 24, v[14:15]
	v_and_b32_e32 v9, v11, v29
	v_mov_b32_e32 v10, v7
	v_mad_u64_u32 v[10:11], vcc, v9, 24, v[10:11]
	v_mov_b32_e32 v7, v10
	global_load_dwordx2 v[26:27], v[6:7], off glc
	s_waitcnt vmcnt(0)
	global_atomic_cmpswap_x2 v[6:7], v8, v[26:29], s[62:63] offset:24 glc
	s_waitcnt vmcnt(0)
	buffer_invl2
	buffer_wbinvl1_vol
	v_cmp_eq_u64_e32 vcc, v[6:7], v[28:29]
	s_or_b64 s[66:67], vcc, s[66:67]
	s_andn2_b64 exec, exec, s[66:67]
	s_cbranch_execnz .LBB0_283
; %bb.284:                              ;   in Loop: Header=BB0_75 Depth=5
	s_or_b64 exec, exec, s[66:67]
.LBB0_285:                              ;   in Loop: Header=BB0_75 Depth=5
	s_or_b64 exec, exec, s[64:65]
.LBB0_286:                              ;   in Loop: Header=BB0_75 Depth=5
	s_or_b64 exec, exec, s[22:23]
	s_waitcnt lgkmcnt(0)
	global_load_dwordx2 v[10:11], v8, s[62:63] offset:40
	global_load_dwordx4 v[26:29], v8, s[62:63]
	v_readfirstlane_b32 s64, v6
	v_readfirstlane_b32 s65, v7
	s_mov_b64 s[22:23], exec
	s_waitcnt vmcnt(1)
	v_readfirstlane_b32 vcc_lo, v10
	v_readfirstlane_b32 vcc_hi, v11
	s_and_b64 s[66:67], s[64:65], vcc
	s_mul_i32 s20, s67, 24
	s_mul_hi_u32 vcc_lo, s66, 24
	s_mul_i32 vcc_hi, s66, 24
	s_add_i32 s20, vcc_lo, s20
	v_mov_b32_e32 v7, s20
	s_waitcnt vmcnt(0)
	v_add_co_u32_e32 v6, vcc, vcc_hi, v26
	v_addc_co_u32_e32 v7, vcc, v27, v7, vcc
	s_and_saveexec_b64 vcc, s[16:17]
	s_cbranch_execz .LBB0_288
; %bb.287:                              ;   in Loop: Header=BB0_75 Depth=5
	v_pk_mov_b32 v[10:11], s[22:23], s[22:23] op_sel:[0,1]
	global_store_dwordx4 v[6:7], v[10:13], off offset:8
.LBB0_288:                              ;   in Loop: Header=BB0_75 Depth=5
	s_or_b64 exec, exec, vcc
	s_lshl_b64 s[22:23], s[66:67], 12
	v_mov_b32_e32 v9, s23
	v_add_co_u32_e32 v10, vcc, s22, v28
	s_mov_b32 s22, s21
	s_mov_b32 s23, s21
	v_addc_co_u32_e32 v9, vcc, v29, v9, vcc
	s_mov_b32 s20, s21
	v_pk_mov_b32 v[50:51], s[22:23], s[22:23] op_sel:[0,1]
	v_lshlrev_b32_e32 v11, 6, v32
	v_pk_mov_b32 v[14:15], s[18:19], s[18:19] op_sel:[0,1]
	v_readfirstlane_b32 s18, v10
	v_readfirstlane_b32 s19, v9
	v_pk_mov_b32 v[48:49], s[20:21], s[20:21] op_sel:[0,1]
	v_mov_b32_e32 v9, v8
	s_nop 2
	global_store_dwordx2 v11, v[14:15], s[18:19]
	global_store_dwordx4 v11, v[48:51], s[18:19] offset:8
	global_store_dwordx4 v11, v[48:51], s[18:19] offset:24
	;; [unrolled: 1-line block ×3, first 2 shown]
	global_store_dwordx2 v11, v[8:9], s[18:19] offset:56
	s_and_saveexec_b64 s[18:19], s[16:17]
	s_cbranch_execz .LBB0_296
; %bb.289:                              ;   in Loop: Header=BB0_75 Depth=5
	global_load_dwordx2 v[50:51], v8, s[62:63] offset:32 glc
	global_load_dwordx2 v[10:11], v8, s[62:63] offset:40
	v_mov_b32_e32 v48, s64
	v_mov_b32_e32 v49, s65
	s_waitcnt vmcnt(0)
	v_and_b32_e32 v9, s64, v10
	v_and_b32_e32 v10, s65, v11
	v_mul_lo_u32 v10, v10, 24
	v_mul_hi_u32 v11, v9, 24
	v_mul_lo_u32 v9, v9, 24
	v_add_u32_e32 v11, v11, v10
	v_add_co_u32_e32 v10, vcc, v26, v9
	v_addc_co_u32_e32 v11, vcc, v27, v11, vcc
	global_store_dwordx2 v[10:11], v[50:51], off
	buffer_wbl2
	s_waitcnt vmcnt(0)
	global_atomic_cmpswap_x2 v[28:29], v8, v[48:51], s[62:63] offset:32 glc
	s_waitcnt vmcnt(0)
	v_cmp_ne_u64_e32 vcc, v[28:29], v[50:51]
	s_and_saveexec_b64 s[22:23], vcc
	s_cbranch_execz .LBB0_292
; %bb.290:                              ;   in Loop: Header=BB0_75 Depth=5
	s_mov_b64 s[66:67], 0
.LBB0_291:                              ;   Parent Loop BB0_3 Depth=1
                                        ;     Parent Loop BB0_6 Depth=2
                                        ;       Parent Loop BB0_11 Depth=3
                                        ;         Parent Loop BB0_43 Depth=4
                                        ;           Parent Loop BB0_75 Depth=5
                                        ; =>          This Inner Loop Header: Depth=6
	s_sleep 1
	global_store_dwordx2 v[10:11], v[28:29], off
	v_mov_b32_e32 v26, s64
	v_mov_b32_e32 v27, s65
	buffer_wbl2
	s_waitcnt vmcnt(0)
	global_atomic_cmpswap_x2 v[14:15], v8, v[26:29], s[62:63] offset:32 glc
	s_waitcnt vmcnt(0)
	v_cmp_eq_u64_e32 vcc, v[14:15], v[28:29]
	s_or_b64 s[66:67], vcc, s[66:67]
	v_pk_mov_b32 v[28:29], v[14:15], v[14:15] op_sel:[0,1]
	s_andn2_b64 exec, exec, s[66:67]
	s_cbranch_execnz .LBB0_291
.LBB0_292:                              ;   in Loop: Header=BB0_75 Depth=5
	s_or_b64 exec, exec, s[22:23]
	global_load_dwordx2 v[10:11], v8, s[62:63] offset:16
	s_mov_b64 s[66:67], exec
	v_mbcnt_lo_u32_b32 v9, s66, 0
	v_mbcnt_hi_u32_b32 v9, s67, v9
	v_cmp_eq_u32_e32 vcc, 0, v9
	s_and_saveexec_b64 s[22:23], vcc
	s_cbranch_execz .LBB0_294
; %bb.293:                              ;   in Loop: Header=BB0_75 Depth=5
	s_bcnt1_i32_b64 s20, s[66:67]
	v_mov_b32_e32 v14, s20
	v_mov_b32_e32 v15, v8
	buffer_wbl2
	s_waitcnt vmcnt(0)
	global_atomic_add_x2 v[10:11], v[14:15], off offset:8
.LBB0_294:                              ;   in Loop: Header=BB0_75 Depth=5
	s_or_b64 exec, exec, s[22:23]
	s_waitcnt vmcnt(0)
	global_load_dwordx2 v[14:15], v[10:11], off offset:16
	s_waitcnt vmcnt(0)
	v_cmp_eq_u64_e32 vcc, 0, v[14:15]
	s_cbranch_vccnz .LBB0_296
; %bb.295:                              ;   in Loop: Header=BB0_75 Depth=5
	global_load_dword v10, v[10:11], off offset:24
	v_mov_b32_e32 v11, v8
	s_waitcnt vmcnt(0)
	v_and_b32_e32 v9, 0xffffff, v10
	v_readfirstlane_b32 m0, v9
	buffer_wbl2
	global_store_dwordx2 v[14:15], v[10:11], off
	s_sendmsg sendmsg(MSG_INTERRUPT)
.LBB0_296:                              ;   in Loop: Header=BB0_75 Depth=5
	s_or_b64 exec, exec, s[18:19]
.LBB0_297:                              ;   Parent Loop BB0_3 Depth=1
                                        ;     Parent Loop BB0_6 Depth=2
                                        ;       Parent Loop BB0_11 Depth=3
                                        ;         Parent Loop BB0_43 Depth=4
                                        ;           Parent Loop BB0_75 Depth=5
                                        ; =>          This Inner Loop Header: Depth=6
	v_mov_b32_e32 v9, 1
	s_and_saveexec_b64 s[18:19], s[16:17]
	s_cbranch_execz .LBB0_299
; %bb.298:                              ;   in Loop: Header=BB0_297 Depth=6
	global_load_dword v9, v[6:7], off offset:20 glc
	s_waitcnt vmcnt(0)
	buffer_invl2
	buffer_wbinvl1_vol
	v_and_b32_e32 v9, 1, v9
.LBB0_299:                              ;   in Loop: Header=BB0_297 Depth=6
	s_or_b64 exec, exec, s[18:19]
	v_readfirstlane_b32 s18, v9
	s_cmp_eq_u32 s18, 0
	s_cbranch_scc1 .LBB0_301
; %bb.300:                              ;   in Loop: Header=BB0_297 Depth=6
	s_mov_b64 s[18:19], 0
	s_sleep 1
	s_branch .LBB0_302
.LBB0_301:                              ;   in Loop: Header=BB0_297 Depth=6
	s_mov_b64 s[18:19], -1
.LBB0_302:                              ;   in Loop: Header=BB0_297 Depth=6
	s_andn2_b64 vcc, exec, s[18:19]
	s_cbranch_vccnz .LBB0_297
; %bb.303:                              ;   in Loop: Header=BB0_75 Depth=5
	s_and_b64 exec, exec, s[16:17]
	s_cbranch_execz .LBB0_307
; %bb.304:                              ;   in Loop: Header=BB0_75 Depth=5
	global_load_dwordx2 v[6:7], v8, s[62:63] offset:40
	global_load_dwordx2 v[10:11], v8, s[62:63] offset:24 glc
	global_load_dwordx2 v[14:15], v8, s[62:63]
	v_mov_b32_e32 v9, s65
	s_waitcnt vmcnt(2)
	v_add_co_u32_e32 v17, vcc, 1, v6
	v_addc_co_u32_e32 v21, vcc, 0, v7, vcc
	v_add_co_u32_e32 v18, vcc, s64, v17
	v_addc_co_u32_e32 v19, vcc, v21, v9, vcc
	v_cmp_eq_u64_e32 vcc, 0, v[18:19]
	v_cndmask_b32_e32 v27, v19, v21, vcc
	v_cndmask_b32_e32 v26, v18, v17, vcc
	v_and_b32_e32 v7, v27, v7
	v_and_b32_e32 v6, v26, v6
	v_mul_lo_u32 v7, v7, 24
	v_mul_hi_u32 v9, v6, 24
	v_mul_lo_u32 v6, v6, 24
	v_add_u32_e32 v7, v9, v7
	s_waitcnt vmcnt(0)
	v_add_co_u32_e32 v6, vcc, v14, v6
	v_addc_co_u32_e32 v7, vcc, v15, v7, vcc
	v_mov_b32_e32 v28, v10
	global_store_dwordx2 v[6:7], v[10:11], off
	v_mov_b32_e32 v29, v11
	buffer_wbl2
	s_waitcnt vmcnt(0)
	global_atomic_cmpswap_x2 v[28:29], v8, v[26:29], s[62:63] offset:24 glc
	s_waitcnt vmcnt(0)
	v_cmp_ne_u64_e32 vcc, v[28:29], v[10:11]
	s_and_b64 exec, exec, vcc
	s_cbranch_execz .LBB0_307
; %bb.305:                              ;   in Loop: Header=BB0_75 Depth=5
	s_mov_b64 s[16:17], 0
.LBB0_306:                              ;   Parent Loop BB0_3 Depth=1
                                        ;     Parent Loop BB0_6 Depth=2
                                        ;       Parent Loop BB0_11 Depth=3
                                        ;         Parent Loop BB0_43 Depth=4
                                        ;           Parent Loop BB0_75 Depth=5
                                        ; =>          This Inner Loop Header: Depth=6
	s_sleep 1
	global_store_dwordx2 v[6:7], v[28:29], off
	buffer_wbl2
	s_waitcnt vmcnt(0)
	global_atomic_cmpswap_x2 v[10:11], v8, v[26:29], s[62:63] offset:24 glc
	s_waitcnt vmcnt(0)
	v_cmp_eq_u64_e32 vcc, v[10:11], v[28:29]
	s_or_b64 s[16:17], vcc, s[16:17]
	v_pk_mov_b32 v[28:29], v[10:11], v[10:11] op_sel:[0,1]
	s_andn2_b64 exec, exec, s[16:17]
	s_cbranch_execnz .LBB0_306
.LBB0_307:                              ;   in Loop: Header=BB0_75 Depth=5
	s_or_b64 exec, exec, s[60:61]
	s_mov_b64 s[22:23], -1
	s_mov_b64 s[16:17], s[58:59]
	s_branch .LBB0_197
.LBB0_308:                              ;   in Loop: Header=BB0_43 Depth=4
	s_cmp_lg_u64 s[58:59], 1
	s_cselect_b64 s[14:15], -1, 0
	s_and_b64 vcc, exec, s[14:15]
	s_cbranch_vccz .LBB0_310
; %bb.309:                              ;   in Loop: Header=BB0_43 Depth=4
	v_pk_mov_b32 v[6:7], s[58:59], s[58:59] op_sel:[0,1]
	v_accvgpr_write_b32 a0, v6
	v_accvgpr_write_b32 a1, v7
	s_branch .LBB0_330
.LBB0_310:                              ;   in Loop: Header=BB0_43 Depth=4
	v_mbcnt_lo_u32_b32 v6, exec_lo, 0
	v_mbcnt_hi_u32_b32 v6, exec_hi, v6
	v_cmp_eq_u32_e32 vcc, 0, v6
	s_and_saveexec_b64 s[16:17], vcc
	s_cbranch_execz .LBB0_327
; %bb.311:                              ;   in Loop: Header=BB0_43 Depth=4
	global_load_dwordx2 v[6:7], v[54:55], off glc
	s_memrealtime s[18:19]
	s_waitcnt lgkmcnt(0)
	v_mov_b32_e32 v9, s19
	s_waitcnt vmcnt(0)
	v_sub_co_u32_e32 v6, vcc, s18, v6
	v_subb_co_u32_e32 v7, vcc, v9, v7, vcc
	v_cmp_gt_u64_e32 vcc, s[46:47], v[6:7]
	s_and_b64 exec, exec, vcc
	s_cbranch_execz .LBB0_327
; %bb.312:                              ;   in Loop: Header=BB0_43 Depth=4
	s_memrealtime s[22:23]
	v_sub_u32_e32 v6, 0x4e20, v6
	v_readfirstlane_b32 s18, v6
	s_ashr_i32 s19, s18, 31
	s_waitcnt lgkmcnt(0)
	s_add_u32 s18, s22, s18
	s_addc_u32 s19, s23, s19
.LBB0_313:                              ;   Parent Loop BB0_3 Depth=1
                                        ;     Parent Loop BB0_6 Depth=2
                                        ;       Parent Loop BB0_11 Depth=3
                                        ;         Parent Loop BB0_43 Depth=4
                                        ; =>        This Inner Loop Header: Depth=5
	s_waitcnt lgkmcnt(0)
	s_add_u32 vcc_lo, s22, 0x659
	s_addc_u32 vcc_hi, s23, 0
	v_pk_mov_b32 v[6:7], vcc, vcc op_sel:[0,1]
	v_cmp_le_u64_e32 vcc, s[18:19], v[6:7]
	s_cbranch_vccnz .LBB0_316
; %bb.314:                              ;   in Loop: Header=BB0_313 Depth=5
	s_sleep 0x7f
	s_memrealtime s[22:23]
	s_branch .LBB0_313
.LBB0_315:                              ;   in Loop: Header=BB0_316 Depth=5
	s_sleep 63
	s_memrealtime s[22:23]
.LBB0_316:                              ;   Parent Loop BB0_3 Depth=1
                                        ;     Parent Loop BB0_6 Depth=2
                                        ;       Parent Loop BB0_11 Depth=3
                                        ;         Parent Loop BB0_43 Depth=4
                                        ; =>        This Inner Loop Header: Depth=5
	s_waitcnt lgkmcnt(0)
	s_add_u32 vcc_lo, s22, 0x326
	s_addc_u32 vcc_hi, s23, 0
	v_pk_mov_b32 v[6:7], vcc, vcc op_sel:[0,1]
	v_cmp_le_u64_e32 vcc, s[18:19], v[6:7]
	s_cbranch_vccz .LBB0_315
; %bb.317:                              ;   in Loop: Header=BB0_43 Depth=4
	s_add_u32 vcc_lo, s22, 0x18c
	s_addc_u32 vcc_hi, s23, 0
	v_pk_mov_b32 v[6:7], vcc, vcc op_sel:[0,1]
	v_cmp_le_u64_e32 vcc, s[18:19], v[6:7]
	s_cbranch_vccnz .LBB0_320
.LBB0_318:                              ;   Parent Loop BB0_3 Depth=1
                                        ;     Parent Loop BB0_6 Depth=2
                                        ;       Parent Loop BB0_11 Depth=3
                                        ;         Parent Loop BB0_43 Depth=4
                                        ; =>        This Inner Loop Header: Depth=5
	s_sleep 31
	s_memrealtime s[22:23]
	s_waitcnt lgkmcnt(0)
	s_add_u32 vcc_lo, s22, 0x18c
	s_addc_u32 vcc_hi, s23, 0
	v_pk_mov_b32 v[6:7], vcc, vcc op_sel:[0,1]
	v_cmp_gt_u64_e32 vcc, s[18:19], v[6:7]
	s_cbranch_vccnz .LBB0_318
	s_branch .LBB0_320
.LBB0_319:                              ;   in Loop: Header=BB0_320 Depth=5
	s_sleep 15
	s_memrealtime s[22:23]
.LBB0_320:                              ;   Parent Loop BB0_3 Depth=1
                                        ;     Parent Loop BB0_6 Depth=2
                                        ;       Parent Loop BB0_11 Depth=3
                                        ;         Parent Loop BB0_43 Depth=4
                                        ; =>        This Inner Loop Header: Depth=5
	s_waitcnt lgkmcnt(0)
	s_add_u32 vcc_lo, s22, 0xc0
	s_addc_u32 vcc_hi, s23, 0
	v_pk_mov_b32 v[6:7], vcc, vcc op_sel:[0,1]
	v_cmp_le_u64_e32 vcc, s[18:19], v[6:7]
	s_cbranch_vccz .LBB0_319
	s_branch .LBB0_322
.LBB0_321:                              ;   in Loop: Header=BB0_322 Depth=5
	s_sleep 7
	s_memrealtime s[22:23]
.LBB0_322:                              ;   Parent Loop BB0_3 Depth=1
                                        ;     Parent Loop BB0_6 Depth=2
                                        ;       Parent Loop BB0_11 Depth=3
                                        ;         Parent Loop BB0_43 Depth=4
                                        ; =>        This Inner Loop Header: Depth=5
	s_waitcnt lgkmcnt(0)
	s_add_u32 vcc_lo, s22, 0x59
	s_addc_u32 vcc_hi, s23, 0
	v_pk_mov_b32 v[6:7], vcc, vcc op_sel:[0,1]
	v_cmp_le_u64_e32 vcc, s[18:19], v[6:7]
	s_cbranch_vccz .LBB0_321
	;; [unrolled: 15-line block ×3, first 2 shown]
; %bb.325:                              ;   in Loop: Header=BB0_43 Depth=4
	v_pk_mov_b32 v[6:7], s[22:23], s[22:23] op_sel:[0,1]
	v_cmp_le_u64_e32 vcc, s[18:19], v[6:7]
	s_cbranch_vccnz .LBB0_327
.LBB0_326:                              ;   Parent Loop BB0_3 Depth=1
                                        ;     Parent Loop BB0_6 Depth=2
                                        ;       Parent Loop BB0_11 Depth=3
                                        ;         Parent Loop BB0_43 Depth=4
                                        ; =>        This Inner Loop Header: Depth=5
	s_sleep 1
	s_memrealtime s[22:23]
	s_waitcnt lgkmcnt(0)
	v_pk_mov_b32 v[6:7], s[22:23], s[22:23] op_sel:[0,1]
	v_cmp_gt_u64_e32 vcc, s[18:19], v[6:7]
	s_cbranch_vccnz .LBB0_326
.LBB0_327:                              ;   in Loop: Header=BB0_43 Depth=4
	s_or_b64 exec, exec, s[16:17]
	v_mov_b32_e32 v6, s90
	s_and_saveexec_b64 s[16:17], s[10:11]
	s_cbranch_execz .LBB0_329
; %bb.328:                              ;   in Loop: Header=BB0_43 Depth=4
	global_load_dword v6, v[56:57], off glc
.LBB0_329:                              ;   in Loop: Header=BB0_43 Depth=4
	s_or_b64 exec, exec, s[16:17]
	s_waitcnt vmcnt(0)
	v_readfirstlane_b32 s90, v6
.LBB0_330:                              ;   in Loop: Header=BB0_43 Depth=4
	v_accvgpr_read_b32 v11, a1
	s_mov_b64 s[16:17], 0
	v_accvgpr_read_b32 v10, a0
.LBB0_331:                              ;   in Loop: Header=BB0_43 Depth=4
	s_and_b64 vcc, exec, s[14:15]
	s_cbranch_vccz .LBB0_43
; %bb.332:                              ;   in Loop: Header=BB0_11 Depth=3
	v_accvgpr_read_b32 v29, a3
	v_accvgpr_read_b32 v35, a5
	;; [unrolled: 1-line block ×5, first 2 shown]
	v_mov_b32_e32 v22, v2
	v_accvgpr_read_b32 v28, a2
	v_accvgpr_read_b32 v34, a4
	;; [unrolled: 1-line block ×5, first 2 shown]
.LBB0_333:                              ;   in Loop: Header=BB0_11 Depth=3
	s_and_b64 s[10:11], s[16:17], exec
	v_pk_mov_b32 v[6:7], v[10:11], v[10:11] op_sel:[0,1]
.LBB0_334:                              ;   in Loop: Header=BB0_11 Depth=3
	s_or_b64 exec, exec, s[56:57]
.LBB0_335:                              ;   in Loop: Header=BB0_11 Depth=3
	s_xor_b64 s[10:11], s[10:11], -1
	s_and_b64 s[10:11], exec, s[10:11]
	s_or_b64 s[54:55], s[10:11], s[54:55]
	s_andn2_b64 exec, exec, s[54:55]
	s_cbranch_execnz .LBB0_11
; %bb.336:                              ;   in Loop: Header=BB0_6 Depth=2
	s_or_b64 exec, exec, s[54:55]
	s_mov_b64 s[6:7], 0
	v_accvgpr_read_b32 v27, a14
	s_branch .LBB0_338
.LBB0_337:                              ;   in Loop: Header=BB0_6 Depth=2
	s_mov_b64 s[6:7], -1
                                        ; implicit-def: $vgpr6_vgpr7
.LBB0_338:                              ;   in Loop: Header=BB0_6 Depth=2
	s_and_b64 vcc, exec, s[6:7]
	s_cbranch_vccz .LBB0_629
; %bb.339:                              ;   in Loop: Header=BB0_6 Depth=2
	v_mbcnt_lo_u32_b32 v0, exec_lo, 0
	v_mbcnt_hi_u32_b32 v26, exec_hi, v0
	s_bcnt1_i32_b64 s62, exec
	v_cmp_eq_u32_e64 s[6:7], 0, v26
                                        ; implicit-def: $vgpr0_vgpr1
.LBB0_340:                              ;   Parent Loop BB0_3 Depth=1
                                        ;     Parent Loop BB0_6 Depth=2
                                        ; =>    This Loop Header: Depth=3
                                        ;         Child Loop BB0_344 Depth 4
                                        ;         Child Loop BB0_372 Depth 4
                                        ;           Child Loop BB0_390 Depth 5
                                        ;           Child Loop BB0_398 Depth 5
	;; [unrolled: 1-line block ×29, first 2 shown]
                                        ;         Child Loop BB0_610 Depth 4
                                        ;         Child Loop BB0_613 Depth 4
	;; [unrolled: 1-line block ×7, first 2 shown]
	s_cmp_eq_u32 s87, 0
	s_mov_b64 s[10:11], -1
	s_cbranch_scc1 .LBB0_369
; %bb.341:                              ;   in Loop: Header=BB0_340 Depth=3
	v_mov_b32_e32 v6, 0
	s_and_saveexec_b64 s[12:13], s[6:7]
	s_cbranch_execz .LBB0_343
; %bb.342:                              ;   in Loop: Header=BB0_340 Depth=3
	global_load_dword v6, v[30:31], off glc
.LBB0_343:                              ;   in Loop: Header=BB0_340 Depth=3
	s_or_b64 exec, exec, s[12:13]
	global_load_dword v9, v[28:29], off
	v_cvt_f32_u32_e32 v7, s87
	s_waitcnt vmcnt(1)
	v_readfirstlane_b32 s12, v6
	v_add_u32_e32 v6, s12, v26
	s_sub_i32 s12, 0, s87
	v_rcp_iflag_f32_e32 v7, v7
	s_mov_b32 s16, s87
	v_mul_f32_e32 v7, 0x4f7ffffe, v7
	v_cvt_u32_f32_e32 v7, v7
	v_mul_lo_u32 v10, s12, v7
	v_mul_hi_u32 v10, v7, v10
	v_add_u32_e32 v10, v7, v10
	v_mul_hi_u32 v7, v6, v10
	v_mul_lo_u32 v7, v7, s87
	v_sub_u32_e32 v6, v6, v7
	v_subrev_u32_e32 v7, s87, v6
	v_cmp_le_u32_e32 vcc, s87, v6
	v_cndmask_b32_e32 v6, v6, v7, vcc
	v_subrev_u32_e32 v7, s87, v6
	v_cmp_le_u32_e32 vcc, s87, v6
	v_cndmask_b32_e32 v11, v6, v7, vcc
.LBB0_344:                              ;   Parent Loop BB0_3 Depth=1
                                        ;     Parent Loop BB0_6 Depth=2
                                        ;       Parent Loop BB0_340 Depth=3
                                        ; =>      This Inner Loop Header: Depth=4
	v_cmp_gt_u32_e32 vcc, s81, v11
                                        ; implicit-def: $vgpr6_vgpr7
	s_and_saveexec_b64 s[12:13], vcc
	s_xor_b64 s[12:13], exec, s[12:13]
; %bb.345:                              ;   in Loop: Header=BB0_344 Depth=4
	v_pk_mov_b32 v[6:7], s[30:31], s[30:31] op_sel:[0,1]
	v_mad_u64_u32 v[6:7], s[14:15], v2, s82, v[6:7]
	v_mad_u64_u32 v[6:7], s[14:15], v11, 24, v[6:7]
; %bb.346:                              ;   in Loop: Header=BB0_344 Depth=4
	s_andn2_saveexec_b64 s[12:13], s[12:13]
	s_cbranch_execz .LBB0_348
; %bb.347:                              ;   in Loop: Header=BB0_344 Depth=4
	v_add_u32_e32 v6, 0xffffff00, v11
	v_lshrrev_b32_e32 v14, 8, v6
	v_pk_mov_b32 v[6:7], s[30:31], s[30:31] op_sel:[0,1]
	v_mad_u64_u32 v[6:7], s[14:15], v2, s82, v[6:7]
	v_mad_u64_u32 v[6:7], s[14:15], v14, 24, v[6:7]
	global_load_dwordx2 v[6:7], v[6:7], off glc
	v_and_b32_e32 v14, 0xff, v11
	s_waitcnt vmcnt(0)
	v_mad_u64_u32 v[6:7], s[14:15], v14, 24, v[6:7]
.LBB0_348:                              ;   in Loop: Header=BB0_344 Depth=4
	s_or_b64 exec, exec, s[12:13]
	global_load_dword v6, v[6:7], off offset:16 glc
	s_waitcnt vmcnt(0)
	v_cmp_lt_u32_e32 vcc, v6, v9
	s_cbranch_vccz .LBB0_350
; %bb.349:                              ;   in Loop: Header=BB0_344 Depth=4
	s_ff1_i32_b64 s12, vcc
	s_lshl_b32 s12, s12, 2
	v_mov_b32_e32 v6, s12
	ds_bpermute_b32 v6, v6, v11
	s_branch .LBB0_351
.LBB0_350:                              ;   in Loop: Header=BB0_344 Depth=4
	v_mov_b32_e32 v6, -1
.LBB0_351:                              ;   in Loop: Header=BB0_344 Depth=4
	s_waitcnt lgkmcnt(0)
	v_readfirstlane_b32 s17, v6
	s_cmp_eq_u32 s17, -1
	s_cselect_b64 s[12:13], -1, 0
	s_and_b64 vcc, exec, s[12:13]
	s_cbranch_vccnz .LBB0_354
; %bb.352:                              ;   in Loop: Header=BB0_344 Depth=4
	s_cmpk_lt_u32 s17, 0x100
	s_cbranch_scc0 .LBB0_355
; %bb.353:                              ;   in Loop: Header=BB0_344 Depth=4
	v_pk_mov_b32 v[6:7], s[30:31], s[30:31] op_sel:[0,1]
	v_mad_u64_u32 v[6:7], s[14:15], v2, s82, v[6:7]
	v_mad_u64_u32 v[6:7], s[14:15], s17, 24, v[6:7]
	s_mov_b64 s[14:15], 0
	s_branch .LBB0_356
.LBB0_354:                              ;   in Loop: Header=BB0_344 Depth=4
	s_mov_b64 s[14:15], -1
                                        ; implicit-def: $vgpr6_vgpr7
	s_branch .LBB0_359
.LBB0_355:                              ;   in Loop: Header=BB0_344 Depth=4
	s_mov_b64 s[14:15], -1
                                        ; implicit-def: $vgpr6_vgpr7
.LBB0_356:                              ;   in Loop: Header=BB0_344 Depth=4
	s_andn2_b64 vcc, exec, s[14:15]
	s_cbranch_vccnz .LBB0_358
; %bb.357:                              ;   in Loop: Header=BB0_344 Depth=4
	s_add_i32 s14, s17, 0xffffff00
	v_pk_mov_b32 v[6:7], s[30:31], s[30:31] op_sel:[0,1]
	s_lshr_b32 s18, s14, 8
	v_mad_u64_u32 v[6:7], s[14:15], v2, s82, v[6:7]
	v_mad_u64_u32 v[6:7], s[14:15], s18, 24, v[6:7]
	global_load_dwordx2 v[6:7], v[6:7], off glc
	s_and_b32 s14, s17, 0xff
	s_waitcnt vmcnt(0)
	v_mad_u64_u32 v[6:7], s[14:15], s14, 24, v[6:7]
.LBB0_358:                              ;   in Loop: Header=BB0_344 Depth=4
	s_mov_b64 s[14:15], 0
.LBB0_359:                              ;   in Loop: Header=BB0_344 Depth=4
	s_andn2_b64 vcc, exec, s[14:15]
	s_cbranch_vccnz .LBB0_363
; %bb.360:                              ;   in Loop: Header=BB0_344 Depth=4
	v_add_u32_e32 v6, s62, v11
	v_mul_hi_u32 v7, v6, v10
	v_mul_lo_u32 v7, v7, s87
	v_sub_u32_e32 v6, v6, v7
	v_subrev_u32_e32 v7, s87, v6
	v_cmp_le_u32_e32 vcc, s87, v6
	v_cndmask_b32_e32 v6, v6, v7, vcc
	v_subrev_u32_e32 v7, s87, v6
	v_cmp_le_u32_e32 vcc, s87, v6
	v_cndmask_b32_e32 v11, v6, v7, vcc
	s_and_saveexec_b64 s[14:15], s[6:7]
	s_cbranch_execz .LBB0_362
; %bb.361:                              ;   in Loop: Header=BB0_344 Depth=4
	global_store_dword v[30:31], v11, off
.LBB0_362:                              ;   in Loop: Header=BB0_344 Depth=4
	s_or_b64 exec, exec, s[14:15]
	s_sub_i32 s16, s16, s62
	v_pk_mov_b32 v[6:7], v[0:1], v[0:1] op_sel:[0,1]
.LBB0_363:                              ;   in Loop: Header=BB0_344 Depth=4
	s_andn2_b64 vcc, exec, s[12:13]
	s_cbranch_vccz .LBB0_365
; %bb.364:                              ;   in Loop: Header=BB0_344 Depth=4
	s_mov_b64 s[12:13], -1
                                        ; implicit-def: $sgpr16
                                        ; implicit-def: $vgpr11
	s_mov_b64 s[14:15], -1
	s_branch .LBB0_366
.LBB0_365:                              ;   in Loop: Header=BB0_344 Depth=4
	s_cmp_lt_i32 s16, 1
	s_mov_b64 s[12:13], 0
	s_cselect_b64 s[14:15], -1, 0
.LBB0_366:                              ;   in Loop: Header=BB0_344 Depth=4
	s_andn2_b64 vcc, exec, s[14:15]
	s_cbranch_vccz .LBB0_368
; %bb.367:                              ;   in Loop: Header=BB0_344 Depth=4
	v_pk_mov_b32 v[0:1], v[6:7], v[6:7] op_sel:[0,1]
	s_branch .LBB0_344
.LBB0_368:                              ;   in Loop: Header=BB0_340 Depth=3
	s_xor_b64 s[12:13], s[12:13], -1
	v_pk_mov_b32 v[0:1], v[6:7], v[6:7] op_sel:[0,1]
	s_branch .LBB0_370
.LBB0_369:                              ;   in Loop: Header=BB0_340 Depth=3
                                        ; implicit-def: $vgpr6_vgpr7
	s_mov_b64 s[12:13], -1
.LBB0_370:                              ;   in Loop: Header=BB0_340 Depth=3
	s_and_b64 vcc, exec, s[12:13]
	s_cbranch_vccz .LBB0_628
; %bb.371:                              ;   in Loop: Header=BB0_340 Depth=3
	v_mbcnt_lo_u32_b32 v6, exec_lo, 0
	v_mbcnt_hi_u32_b32 v6, exec_hi, v6
	v_cmp_eq_u32_e64 s[10:11], 0, v6
                                        ; implicit-def: $sgpr16_sgpr17
.LBB0_372:                              ;   Parent Loop BB0_3 Depth=1
                                        ;     Parent Loop BB0_6 Depth=2
                                        ;       Parent Loop BB0_340 Depth=3
                                        ; =>      This Loop Header: Depth=4
                                        ;           Child Loop BB0_390 Depth 5
                                        ;           Child Loop BB0_398 Depth 5
	;; [unrolled: 1-line block ×29, first 2 shown]
	v_mov_b32_e32 v6, 0
	s_and_saveexec_b64 s[12:13], s[10:11]
	s_cbranch_execz .LBB0_374
; %bb.373:                              ;   in Loop: Header=BB0_372 Depth=4
	global_load_dword v6, v[30:31], off offset:2048 glc
.LBB0_374:                              ;   in Loop: Header=BB0_372 Depth=4
	s_or_b64 exec, exec, s[12:13]
	s_waitcnt vmcnt(0)
	v_readfirstlane_b32 s63, v6
	s_cmp_eq_u32 s63, 0x10100
	s_cbranch_scc1 .LBB0_485
; %bb.375:                              ;   in Loop: Header=BB0_372 Depth=4
	v_mov_b32_e32 v6, 0
	s_and_saveexec_b64 s[12:13], s[10:11]
	s_cbranch_execz .LBB0_377
; %bb.376:                              ;   in Loop: Header=BB0_372 Depth=4
	v_mov_b32_e32 v41, v8
	global_atomic_cmpswap v6, v[36:37], v[40:41], off glc
	s_waitcnt vmcnt(0)
	v_cmp_ne_u32_e32 vcc, 0, v6
	v_cndmask_b32_e32 v6, v40, v6, vcc
.LBB0_377:                              ;   in Loop: Header=BB0_372 Depth=4
	s_or_b64 exec, exec, s[12:13]
	v_readfirstlane_b32 s64, v6
	s_cmp_lg_u32 s63, s64
	s_mov_b64 s[12:13], -1
	s_cbranch_scc1 .LBB0_486
; %bb.378:                              ;   in Loop: Header=BB0_372 Depth=4
	v_mbcnt_lo_u32_b32 v7, exec_lo, 0
	v_mbcnt_hi_u32_b32 v7, exec_hi, v7
	v_mov_b32_e32 v6, 0
	v_cmp_eq_u32_e64 s[12:13], 0, v7
	s_and_saveexec_b64 s[14:15], s[12:13]
	s_cbranch_execz .LBB0_380
; %bb.379:                              ;   in Loop: Header=BB0_372 Depth=4
	global_load_dword v6, v[36:37], off glc
.LBB0_380:                              ;   in Loop: Header=BB0_372 Depth=4
	s_or_b64 exec, exec, s[14:15]
	s_waitcnt vmcnt(0)
	v_readfirstlane_b32 s65, v6
	s_cmp_eq_u32 s65, 0x10100
	s_mov_b32 s20, 2
	s_cbranch_scc1 .LBB0_465
; %bb.381:                              ;   in Loop: Header=BB0_372 Depth=4
	v_mov_b32_e32 v6, 1
	s_and_saveexec_b64 s[14:15], s[12:13]
	s_cbranch_execz .LBB0_385
; %bb.382:                              ;   in Loop: Header=BB0_372 Depth=4
	global_load_dwordx2 v[24:25], v[48:49], off glc
	s_memrealtime s[18:19]
	s_waitcnt lgkmcnt(0)
	v_mov_b32_e32 v7, s19
	s_waitcnt vmcnt(0)
	v_sub_co_u32_e32 v6, vcc, s18, v24
	v_subb_co_u32_e32 v7, vcc, v7, v25, vcc
	v_cmp_lt_u64_e32 vcc, s[40:41], v[6:7]
	v_mov_b32_e32 v6, 1
	s_and_saveexec_b64 s[22:23], vcc
	s_cbranch_execz .LBB0_384
; %bb.383:                              ;   in Loop: Header=BB0_372 Depth=4
	v_mov_b32_e32 v22, s18
	v_mov_b32_e32 v23, s19
	global_atomic_cmpswap_x2 v[6:7], v[48:49], v[22:25], off glc
	s_waitcnt vmcnt(0)
	v_cmp_eq_u64_e32 vcc, v[6:7], v[24:25]
	v_cndmask_b32_e64 v6, 1, 2, vcc
.LBB0_384:                              ;   in Loop: Header=BB0_372 Depth=4
	s_or_b64 exec, exec, s[22:23]
.LBB0_385:                              ;   in Loop: Header=BB0_372 Depth=4
	s_or_b64 exec, exec, s[14:15]
	v_readfirstlane_b32 s66, v6
	s_cmp_eq_u32 s66, 1
	s_mov_b32 s20, 1
	s_cbranch_scc1 .LBB0_465
; %bb.386:                              ;   in Loop: Header=BB0_372 Depth=4
	v_pk_mov_b32 v[6:7], 0, 0
	s_and_saveexec_b64 s[18:19], s[12:13]
	s_cbranch_execz .LBB0_415
; %bb.387:                              ;   in Loop: Header=BB0_372 Depth=4
	s_load_dwordx2 s[54:55], s[8:9], 0x50
	v_readfirstlane_b32 s14, v32
	v_cmp_eq_u32_e64 s[14:15], s14, v32
	v_pk_mov_b32 v[6:7], 0, 0
	s_and_saveexec_b64 s[22:23], s[14:15]
	s_cbranch_execz .LBB0_393
; %bb.388:                              ;   in Loop: Header=BB0_372 Depth=4
	s_waitcnt lgkmcnt(0)
	global_load_dwordx2 v[24:25], v8, s[54:55] offset:24 glc
	s_waitcnt vmcnt(0)
	buffer_invl2
	buffer_wbinvl1_vol
	global_load_dwordx2 v[6:7], v8, s[54:55] offset:40
	global_load_dwordx2 v[10:11], v8, s[54:55]
	s_waitcnt vmcnt(1)
	v_and_b32_e32 v6, v6, v24
	v_and_b32_e32 v7, v7, v25
	v_mul_lo_u32 v7, v7, 24
	v_mul_hi_u32 v9, v6, 24
	v_mul_lo_u32 v6, v6, 24
	v_add_u32_e32 v7, v9, v7
	s_waitcnt vmcnt(0)
	v_add_co_u32_e32 v6, vcc, v10, v6
	v_addc_co_u32_e32 v7, vcc, v11, v7, vcc
	global_load_dwordx2 v[22:23], v[6:7], off glc
	s_waitcnt vmcnt(0)
	global_atomic_cmpswap_x2 v[6:7], v8, v[22:25], s[54:55] offset:24 glc
	s_waitcnt vmcnt(0)
	buffer_invl2
	buffer_wbinvl1_vol
	v_cmp_ne_u64_e32 vcc, v[6:7], v[24:25]
	s_and_saveexec_b64 s[56:57], vcc
	s_cbranch_execz .LBB0_392
; %bb.389:                              ;   in Loop: Header=BB0_372 Depth=4
	s_mov_b64 s[58:59], 0
.LBB0_390:                              ;   Parent Loop BB0_3 Depth=1
                                        ;     Parent Loop BB0_6 Depth=2
                                        ;       Parent Loop BB0_340 Depth=3
                                        ;         Parent Loop BB0_372 Depth=4
                                        ; =>        This Inner Loop Header: Depth=5
	s_sleep 1
	global_load_dwordx2 v[10:11], v8, s[54:55] offset:40
	global_load_dwordx2 v[14:15], v8, s[54:55]
	v_pk_mov_b32 v[24:25], v[6:7], v[6:7] op_sel:[0,1]
	s_waitcnt vmcnt(1)
	v_and_b32_e32 v6, v10, v24
	s_waitcnt vmcnt(0)
	v_mad_u64_u32 v[6:7], vcc, v6, 24, v[14:15]
	v_and_b32_e32 v9, v11, v25
	v_mov_b32_e32 v10, v7
	v_mad_u64_u32 v[10:11], vcc, v9, 24, v[10:11]
	v_mov_b32_e32 v7, v10
	global_load_dwordx2 v[22:23], v[6:7], off glc
	s_waitcnt vmcnt(0)
	global_atomic_cmpswap_x2 v[6:7], v8, v[22:25], s[54:55] offset:24 glc
	s_waitcnt vmcnt(0)
	buffer_invl2
	buffer_wbinvl1_vol
	v_cmp_eq_u64_e32 vcc, v[6:7], v[24:25]
	s_or_b64 s[58:59], vcc, s[58:59]
	s_andn2_b64 exec, exec, s[58:59]
	s_cbranch_execnz .LBB0_390
; %bb.391:                              ;   in Loop: Header=BB0_372 Depth=4
	s_or_b64 exec, exec, s[58:59]
.LBB0_392:                              ;   in Loop: Header=BB0_372 Depth=4
	s_or_b64 exec, exec, s[56:57]
.LBB0_393:                              ;   in Loop: Header=BB0_372 Depth=4
	s_or_b64 exec, exec, s[22:23]
	s_waitcnt lgkmcnt(0)
	global_load_dwordx2 v[10:11], v8, s[54:55] offset:40
	global_load_dwordx4 v[22:25], v8, s[54:55]
	v_readfirstlane_b32 s56, v6
	v_readfirstlane_b32 s57, v7
	s_mov_b64 s[22:23], exec
	s_waitcnt vmcnt(1)
	v_readfirstlane_b32 vcc_lo, v10
	v_readfirstlane_b32 vcc_hi, v11
	s_and_b64 s[58:59], s[56:57], vcc
	s_mul_i32 s20, s59, 24
	s_mul_hi_u32 vcc_lo, s58, 24
	s_mul_i32 vcc_hi, s58, 24
	s_add_i32 s20, vcc_lo, s20
	v_mov_b32_e32 v7, s20
	s_waitcnt vmcnt(0)
	v_add_co_u32_e32 v6, vcc, vcc_hi, v22
	v_addc_co_u32_e32 v7, vcc, v23, v7, vcc
	s_and_saveexec_b64 vcc, s[14:15]
	s_cbranch_execz .LBB0_395
; %bb.394:                              ;   in Loop: Header=BB0_372 Depth=4
	v_pk_mov_b32 v[10:11], s[22:23], s[22:23] op_sel:[0,1]
	global_store_dwordx4 v[6:7], v[10:13], off offset:8
.LBB0_395:                              ;   in Loop: Header=BB0_372 Depth=4
	s_or_b64 exec, exec, vcc
	s_lshl_b64 s[22:23], s[58:59], 12
	v_mov_b32_e32 v9, s23
	v_add_co_u32_e32 v10, vcc, s22, v24
	s_mov_b32 s22, s21
	s_mov_b32 s23, s21
	v_addc_co_u32_e32 v9, vcc, v25, v9, vcc
	s_mov_b32 s20, s21
	v_pk_mov_b32 v[52:53], s[22:23], s[22:23] op_sel:[0,1]
	v_lshlrev_b32_e32 v11, 6, v32
	v_mov_b32_e32 v14, v8
	v_mov_b32_e32 v15, v8
	;; [unrolled: 1-line block ×3, first 2 shown]
	v_readfirstlane_b32 s58, v10
	v_readfirstlane_b32 s59, v9
	v_pk_mov_b32 v[50:51], s[20:21], s[20:21] op_sel:[0,1]
	s_nop 3
	global_store_dwordx4 v11, v[14:17], s[58:59]
	global_store_dwordx4 v11, v[50:53], s[58:59] offset:16
	global_store_dwordx4 v11, v[50:53], s[58:59] offset:32
	;; [unrolled: 1-line block ×3, first 2 shown]
	s_and_saveexec_b64 s[22:23], s[14:15]
	s_cbranch_execz .LBB0_403
; %bb.396:                              ;   in Loop: Header=BB0_372 Depth=4
	global_load_dwordx2 v[52:53], v8, s[54:55] offset:32 glc
	global_load_dwordx2 v[14:15], v8, s[54:55] offset:40
	v_mov_b32_e32 v50, s56
	v_mov_b32_e32 v51, s57
	s_waitcnt vmcnt(0)
	v_and_b32_e32 v14, s56, v14
	v_and_b32_e32 v15, s57, v15
	v_mul_lo_u32 v15, v15, 24
	v_mul_hi_u32 v17, v14, 24
	v_mul_lo_u32 v14, v14, 24
	v_add_u32_e32 v15, v17, v15
	v_add_co_u32_e32 v14, vcc, v22, v14
	v_addc_co_u32_e32 v15, vcc, v23, v15, vcc
	global_store_dwordx2 v[14:15], v[52:53], off
	buffer_wbl2
	s_waitcnt vmcnt(0)
	global_atomic_cmpswap_x2 v[24:25], v8, v[50:53], s[54:55] offset:32 glc
	s_waitcnt vmcnt(0)
	v_cmp_ne_u64_e32 vcc, v[24:25], v[52:53]
	s_and_saveexec_b64 s[58:59], vcc
	s_cbranch_execz .LBB0_399
; %bb.397:                              ;   in Loop: Header=BB0_372 Depth=4
	s_mov_b64 s[60:61], 0
.LBB0_398:                              ;   Parent Loop BB0_3 Depth=1
                                        ;     Parent Loop BB0_6 Depth=2
                                        ;       Parent Loop BB0_340 Depth=3
                                        ;         Parent Loop BB0_372 Depth=4
                                        ; =>        This Inner Loop Header: Depth=5
	s_sleep 1
	global_store_dwordx2 v[14:15], v[24:25], off
	v_mov_b32_e32 v22, s56
	v_mov_b32_e32 v23, s57
	buffer_wbl2
	s_waitcnt vmcnt(0)
	global_atomic_cmpswap_x2 v[18:19], v8, v[22:25], s[54:55] offset:32 glc
	s_waitcnt vmcnt(0)
	v_cmp_eq_u64_e32 vcc, v[18:19], v[24:25]
	s_or_b64 s[60:61], vcc, s[60:61]
	v_pk_mov_b32 v[24:25], v[18:19], v[18:19] op_sel:[0,1]
	s_andn2_b64 exec, exec, s[60:61]
	s_cbranch_execnz .LBB0_398
.LBB0_399:                              ;   in Loop: Header=BB0_372 Depth=4
	s_or_b64 exec, exec, s[58:59]
	global_load_dwordx2 v[14:15], v8, s[54:55] offset:16
	s_mov_b64 s[60:61], exec
	v_mbcnt_lo_u32_b32 v17, s60, 0
	v_mbcnt_hi_u32_b32 v17, s61, v17
	v_cmp_eq_u32_e32 vcc, 0, v17
	s_and_saveexec_b64 s[58:59], vcc
	s_cbranch_execz .LBB0_401
; %bb.400:                              ;   in Loop: Header=BB0_372 Depth=4
	s_bcnt1_i32_b64 s20, s[60:61]
	v_mov_b32_e32 v18, s20
	v_mov_b32_e32 v19, v8
	buffer_wbl2
	s_waitcnt vmcnt(0)
	global_atomic_add_x2 v[14:15], v[18:19], off offset:8
.LBB0_401:                              ;   in Loop: Header=BB0_372 Depth=4
	s_or_b64 exec, exec, s[58:59]
	s_waitcnt vmcnt(0)
	global_load_dwordx2 v[18:19], v[14:15], off offset:16
	s_waitcnt vmcnt(0)
	v_cmp_eq_u64_e32 vcc, 0, v[18:19]
	s_cbranch_vccnz .LBB0_403
; %bb.402:                              ;   in Loop: Header=BB0_372 Depth=4
	global_load_dword v14, v[14:15], off offset:24
	v_mov_b32_e32 v15, v8
	buffer_wbl2
	s_waitcnt vmcnt(0)
	global_store_dwordx2 v[18:19], v[14:15], off
	v_and_b32_e32 v14, 0xffffff, v14
	v_readfirstlane_b32 m0, v14
	s_sendmsg sendmsg(MSG_INTERRUPT)
.LBB0_403:                              ;   in Loop: Header=BB0_372 Depth=4
	s_or_b64 exec, exec, s[22:23]
	v_add_co_u32_e32 v10, vcc, v10, v11
	v_addc_co_u32_e32 v11, vcc, 0, v9, vcc
.LBB0_404:                              ;   Parent Loop BB0_3 Depth=1
                                        ;     Parent Loop BB0_6 Depth=2
                                        ;       Parent Loop BB0_340 Depth=3
                                        ;         Parent Loop BB0_372 Depth=4
                                        ; =>        This Inner Loop Header: Depth=5
	v_mov_b32_e32 v9, 1
	s_and_saveexec_b64 s[22:23], s[14:15]
	s_cbranch_execz .LBB0_406
; %bb.405:                              ;   in Loop: Header=BB0_404 Depth=5
	global_load_dword v9, v[6:7], off offset:20 glc
	s_waitcnt vmcnt(0)
	buffer_invl2
	buffer_wbinvl1_vol
	v_and_b32_e32 v9, 1, v9
.LBB0_406:                              ;   in Loop: Header=BB0_404 Depth=5
	s_or_b64 exec, exec, s[22:23]
	v_readfirstlane_b32 s20, v9
	s_cmp_eq_u32 s20, 0
	s_cbranch_scc1 .LBB0_408
; %bb.407:                              ;   in Loop: Header=BB0_404 Depth=5
	s_mov_b64 s[22:23], 0
	s_sleep 1
	s_branch .LBB0_409
.LBB0_408:                              ;   in Loop: Header=BB0_404 Depth=5
	s_mov_b64 s[22:23], -1
.LBB0_409:                              ;   in Loop: Header=BB0_404 Depth=5
	s_andn2_b64 vcc, exec, s[22:23]
	s_cbranch_vccnz .LBB0_404
; %bb.410:                              ;   in Loop: Header=BB0_372 Depth=4
	global_load_dwordx2 v[6:7], v[10:11], off
	s_and_saveexec_b64 s[22:23], s[14:15]
	s_cbranch_execz .LBB0_414
; %bb.411:                              ;   in Loop: Header=BB0_372 Depth=4
	global_load_dwordx2 v[10:11], v8, s[54:55] offset:40
	global_load_dwordx2 v[14:15], v8, s[54:55] offset:24 glc
	global_load_dwordx2 v[18:19], v8, s[54:55]
	v_mov_b32_e32 v9, s57
	s_waitcnt vmcnt(2)
	v_add_co_u32_e32 v17, vcc, 1, v10
	v_addc_co_u32_e32 v21, vcc, 0, v11, vcc
	v_add_co_u32_e32 v22, vcc, s56, v17
	v_addc_co_u32_e32 v23, vcc, v21, v9, vcc
	v_cmp_eq_u64_e32 vcc, 0, v[22:23]
	v_cndmask_b32_e32 v23, v23, v21, vcc
	v_cndmask_b32_e32 v22, v22, v17, vcc
	v_and_b32_e32 v9, v23, v11
	v_and_b32_e32 v10, v22, v10
	v_mul_lo_u32 v9, v9, 24
	v_mul_hi_u32 v11, v10, 24
	v_mul_lo_u32 v10, v10, 24
	v_add_u32_e32 v9, v11, v9
	s_waitcnt vmcnt(0)
	v_add_co_u32_e32 v10, vcc, v18, v10
	v_addc_co_u32_e32 v11, vcc, v19, v9, vcc
	v_mov_b32_e32 v24, v14
	global_store_dwordx2 v[10:11], v[14:15], off
	v_mov_b32_e32 v25, v15
	buffer_wbl2
	s_waitcnt vmcnt(0)
	global_atomic_cmpswap_x2 v[24:25], v8, v[22:25], s[54:55] offset:24 glc
	s_waitcnt vmcnt(0)
	v_cmp_ne_u64_e32 vcc, v[24:25], v[14:15]
	s_and_b64 exec, exec, vcc
	s_cbranch_execz .LBB0_414
; %bb.412:                              ;   in Loop: Header=BB0_372 Depth=4
	s_mov_b64 s[14:15], 0
.LBB0_413:                              ;   Parent Loop BB0_3 Depth=1
                                        ;     Parent Loop BB0_6 Depth=2
                                        ;       Parent Loop BB0_340 Depth=3
                                        ;         Parent Loop BB0_372 Depth=4
                                        ; =>        This Inner Loop Header: Depth=5
	s_sleep 1
	global_store_dwordx2 v[10:11], v[24:25], off
	buffer_wbl2
	s_waitcnt vmcnt(0)
	global_atomic_cmpswap_x2 v[14:15], v8, v[22:25], s[54:55] offset:24 glc
	s_waitcnt vmcnt(0)
	v_cmp_eq_u64_e32 vcc, v[14:15], v[24:25]
	s_or_b64 s[14:15], vcc, s[14:15]
	v_pk_mov_b32 v[24:25], v[14:15], v[14:15] op_sel:[0,1]
	s_andn2_b64 exec, exec, s[14:15]
	s_cbranch_execnz .LBB0_413
.LBB0_414:                              ;   in Loop: Header=BB0_372 Depth=4
	s_or_b64 exec, exec, s[22:23]
.LBB0_415:                              ;   in Loop: Header=BB0_372 Depth=4
	s_or_b64 exec, exec, s[18:19]
	s_waitcnt vmcnt(0)
	v_readfirstlane_b32 s22, v6
	v_readfirstlane_b32 s23, v7
	s_cmp_eq_u64 s[22:23], 0
	s_cbranch_scc1 .LBB0_464
; %bb.416:                              ;   in Loop: Header=BB0_372 Depth=4
	s_mov_b64 s[14:15], exec
	v_mbcnt_lo_u32_b32 v6, exec_lo, 0
	v_mbcnt_hi_u32_b32 v10, s15, v6
	v_cmp_gt_u32_e32 vcc, s84, v10
	s_and_saveexec_b64 s[18:19], vcc
	s_cbranch_execz .LBB0_419
; %bb.417:                              ;   in Loop: Header=BB0_372 Depth=4
	v_lshlrev_b32_e32 v6, 3, v10
	s_bcnt1_i32_b64 s20, s[14:15]
	v_mov_b32_e32 v7, s23
	v_add_co_u32_e32 v6, vcc, s22, v6
	v_addc_co_u32_e32 v7, vcc, 0, v7, vcc
	s_lshl_b32 s56, s20, 3
	s_mov_b64 s[54:55], 0
.LBB0_418:                              ;   Parent Loop BB0_3 Depth=1
                                        ;     Parent Loop BB0_6 Depth=2
                                        ;       Parent Loop BB0_340 Depth=3
                                        ;         Parent Loop BB0_372 Depth=4
                                        ; =>        This Inner Loop Header: Depth=5
	v_mov_b32_e32 v9, v8
	v_add_u32_e32 v10, s20, v10
	v_mov_b32_e32 v11, s21
	global_store_dwordx2 v[6:7], v[8:9], off
	v_cmp_lt_u32_e32 vcc, s85, v10
	v_add_co_u32_e64 v6, s[14:15], s56, v6
	s_or_b64 s[54:55], vcc, s[54:55]
	v_addc_co_u32_e64 v7, vcc, v7, v11, s[14:15]
	s_andn2_b64 exec, exec, s[54:55]
	s_cbranch_execnz .LBB0_418
.LBB0_419:                              ;   in Loop: Header=BB0_372 Depth=4
	s_or_b64 exec, exec, s[18:19]
.LBB0_420:                              ;   Parent Loop BB0_3 Depth=1
                                        ;     Parent Loop BB0_6 Depth=2
                                        ;       Parent Loop BB0_340 Depth=3
                                        ;         Parent Loop BB0_372 Depth=4
                                        ; =>        This Inner Loop Header: Depth=5
	v_mov_b32_e32 v6, s65
	s_and_saveexec_b64 s[14:15], s[12:13]
	s_cbranch_execz .LBB0_422
; %bb.421:                              ;   in Loop: Header=BB0_420 Depth=5
	global_load_dword v6, v[36:37], off glc
.LBB0_422:                              ;   in Loop: Header=BB0_420 Depth=5
	s_or_b64 exec, exec, s[14:15]
	s_waitcnt vmcnt(0)
	v_readfirstlane_b32 s65, v6
	s_cmp_lg_u32 s65, 0x10100
	s_mov_b64 s[18:19], -1
	s_cbranch_scc0 .LBB0_429
; %bb.423:                              ;   in Loop: Header=BB0_420 Depth=5
	v_mov_b32_e32 v6, s66
	s_and_saveexec_b64 s[14:15], s[12:13]
	s_cbranch_execz .LBB0_427
; %bb.424:                              ;   in Loop: Header=BB0_420 Depth=5
	s_add_i32 s18, s65, 0xffffff00
	v_pk_mov_b32 v[6:7], s[30:31], s[30:31] op_sel:[0,1]
	s_lshr_b32 s20, s18, 8
	v_mad_u64_u32 v[6:7], s[18:19], v2, s82, v[6:7]
	v_mad_u64_u32 v[10:11], s[18:19], s20, 24, v[6:7]
	v_mov_b32_e32 v6, s22
	v_mov_b32_e32 v7, s23
	v_mov_b32_e32 v9, v8
	global_atomic_cmpswap_x2 v[6:7], v[10:11], v[6:9], off glc
	s_waitcnt vmcnt(0)
	v_cmp_eq_u64_e32 vcc, 0, v[6:7]
	v_mov_b32_e32 v6, s66
	s_and_saveexec_b64 s[18:19], vcc
	s_cbranch_execz .LBB0_426
; %bb.425:                              ;   in Loop: Header=BB0_420 Depth=5
	global_atomic_add v[36:37], v40, off
	v_mov_b32_e32 v6, 0
.LBB0_426:                              ;   in Loop: Header=BB0_420 Depth=5
	s_or_b64 exec, exec, s[18:19]
.LBB0_427:                              ;   in Loop: Header=BB0_420 Depth=5
	s_or_b64 exec, exec, s[14:15]
	v_readfirstlane_b32 vcc_lo, v6
	s_cmp_eq_u32 vcc_lo, 0
	s_cbranch_scc1 .LBB0_430
; %bb.428:                              ;   in Loop: Header=BB0_420 Depth=5
	s_mov_b64 s[14:15], 0
	s_sleep 2
                                        ; implicit-def: $sgpr66
	s_branch .LBB0_431
.LBB0_429:                              ;   in Loop: Header=BB0_420 Depth=5
                                        ; implicit-def: $sgpr65
                                        ; implicit-def: $sgpr20
	s_mov_b32 s60, s66
	s_mov_b64 s[14:15], -1
	s_branch .LBB0_432
.LBB0_430:                              ;   in Loop: Header=BB0_420 Depth=5
	s_mov_b64 s[14:15], -1
                                        ; implicit-def: $sgpr65
                                        ; implicit-def: $vcc_lo
.LBB0_431:                              ;   in Loop: Header=BB0_420 Depth=5
	s_mov_b32 s60, s66
	s_mov_b32 s20, 0
	s_mov_b64 s[18:19], 0
	s_mov_b32 s66, vcc_lo
.LBB0_432:                              ;   in Loop: Header=BB0_420 Depth=5
	s_and_b64 vcc, exec, s[14:15]
	s_cbranch_vccz .LBB0_420
; %bb.433:                              ;   in Loop: Header=BB0_372 Depth=4
	s_and_b64 vcc, exec, s[18:19]
	s_cbranch_vccz .LBB0_463
; %bb.434:                              ;   in Loop: Header=BB0_372 Depth=4
	s_and_saveexec_b64 s[14:15], s[12:13]
	s_cbranch_execz .LBB0_462
; %bb.435:                              ;   in Loop: Header=BB0_372 Depth=4
	s_load_dwordx2 s[18:19], s[8:9], 0x50
	v_readfirstlane_b32 s12, v32
	v_cmp_eq_u32_e64 s[12:13], s12, v32
	v_pk_mov_b32 v[6:7], 0, 0
	s_and_saveexec_b64 s[54:55], s[12:13]
	s_cbranch_execz .LBB0_441
; %bb.436:                              ;   in Loop: Header=BB0_372 Depth=4
	s_waitcnt lgkmcnt(0)
	global_load_dwordx2 v[24:25], v8, s[18:19] offset:24 glc
	s_waitcnt vmcnt(0)
	buffer_invl2
	buffer_wbinvl1_vol
	global_load_dwordx2 v[6:7], v8, s[18:19] offset:40
	global_load_dwordx2 v[10:11], v8, s[18:19]
	s_waitcnt vmcnt(1)
	v_and_b32_e32 v6, v6, v24
	v_and_b32_e32 v7, v7, v25
	v_mul_lo_u32 v7, v7, 24
	v_mul_hi_u32 v9, v6, 24
	v_mul_lo_u32 v6, v6, 24
	v_add_u32_e32 v7, v9, v7
	s_waitcnt vmcnt(0)
	v_add_co_u32_e32 v6, vcc, v10, v6
	v_addc_co_u32_e32 v7, vcc, v11, v7, vcc
	global_load_dwordx2 v[22:23], v[6:7], off glc
	s_waitcnt vmcnt(0)
	global_atomic_cmpswap_x2 v[6:7], v8, v[22:25], s[18:19] offset:24 glc
	s_waitcnt vmcnt(0)
	buffer_invl2
	buffer_wbinvl1_vol
	v_cmp_ne_u64_e32 vcc, v[6:7], v[24:25]
	s_and_saveexec_b64 s[56:57], vcc
	s_cbranch_execz .LBB0_440
; %bb.437:                              ;   in Loop: Header=BB0_372 Depth=4
	s_mov_b64 s[58:59], 0
.LBB0_438:                              ;   Parent Loop BB0_3 Depth=1
                                        ;     Parent Loop BB0_6 Depth=2
                                        ;       Parent Loop BB0_340 Depth=3
                                        ;         Parent Loop BB0_372 Depth=4
                                        ; =>        This Inner Loop Header: Depth=5
	s_sleep 1
	global_load_dwordx2 v[10:11], v8, s[18:19] offset:40
	global_load_dwordx2 v[14:15], v8, s[18:19]
	v_pk_mov_b32 v[24:25], v[6:7], v[6:7] op_sel:[0,1]
	s_waitcnt vmcnt(1)
	v_and_b32_e32 v6, v10, v24
	s_waitcnt vmcnt(0)
	v_mad_u64_u32 v[6:7], vcc, v6, 24, v[14:15]
	v_and_b32_e32 v9, v11, v25
	v_mov_b32_e32 v10, v7
	v_mad_u64_u32 v[10:11], vcc, v9, 24, v[10:11]
	v_mov_b32_e32 v7, v10
	global_load_dwordx2 v[22:23], v[6:7], off glc
	s_waitcnt vmcnt(0)
	global_atomic_cmpswap_x2 v[6:7], v8, v[22:25], s[18:19] offset:24 glc
	s_waitcnt vmcnt(0)
	buffer_invl2
	buffer_wbinvl1_vol
	v_cmp_eq_u64_e32 vcc, v[6:7], v[24:25]
	s_or_b64 s[58:59], vcc, s[58:59]
	s_andn2_b64 exec, exec, s[58:59]
	s_cbranch_execnz .LBB0_438
; %bb.439:                              ;   in Loop: Header=BB0_372 Depth=4
	s_or_b64 exec, exec, s[58:59]
.LBB0_440:                              ;   in Loop: Header=BB0_372 Depth=4
	s_or_b64 exec, exec, s[56:57]
.LBB0_441:                              ;   in Loop: Header=BB0_372 Depth=4
	s_or_b64 exec, exec, s[54:55]
	s_waitcnt lgkmcnt(0)
	global_load_dwordx2 v[10:11], v8, s[18:19] offset:40
	global_load_dwordx4 v[22:25], v8, s[18:19]
	v_readfirstlane_b32 s54, v6
	v_readfirstlane_b32 s55, v7
	s_mov_b64 s[56:57], exec
	s_waitcnt vmcnt(1)
	v_readfirstlane_b32 vcc_lo, v10
	v_readfirstlane_b32 vcc_hi, v11
	s_and_b64 s[58:59], s[54:55], vcc
	s_mul_i32 s20, s59, 24
	s_mul_hi_u32 vcc_lo, s58, 24
	s_mul_i32 vcc_hi, s58, 24
	s_add_i32 s20, vcc_lo, s20
	v_mov_b32_e32 v7, s20
	s_waitcnt vmcnt(0)
	v_add_co_u32_e32 v6, vcc, vcc_hi, v22
	v_addc_co_u32_e32 v7, vcc, v23, v7, vcc
	s_and_saveexec_b64 vcc, s[12:13]
	s_cbranch_execz .LBB0_443
; %bb.442:                              ;   in Loop: Header=BB0_372 Depth=4
	v_pk_mov_b32 v[10:11], s[56:57], s[56:57] op_sel:[0,1]
	global_store_dwordx4 v[6:7], v[10:13], off offset:8
.LBB0_443:                              ;   in Loop: Header=BB0_372 Depth=4
	s_or_b64 exec, exec, vcc
	s_lshl_b64 vcc, s[58:59], 12
	v_mov_b32_e32 v9, vcc_hi
	v_add_co_u32_e32 v10, vcc, vcc_lo, v24
	v_pk_mov_b32 v[14:15], s[22:23], s[22:23] op_sel:[0,1]
	s_mov_b32 s22, s21
	s_mov_b32 s23, s21
	v_addc_co_u32_e32 v9, vcc, v25, v9, vcc
	s_mov_b32 s20, s21
	v_pk_mov_b32 v[52:53], s[22:23], s[22:23] op_sel:[0,1]
	v_lshlrev_b32_e32 v11, 6, v32
	v_readfirstlane_b32 s56, v10
	v_readfirstlane_b32 s57, v9
	v_pk_mov_b32 v[50:51], s[20:21], s[20:21] op_sel:[0,1]
	v_mov_b32_e32 v9, v8
	s_nop 2
	global_store_dwordx2 v11, v[14:15], s[56:57]
	global_store_dwordx4 v11, v[50:53], s[56:57] offset:8
	global_store_dwordx4 v11, v[50:53], s[56:57] offset:24
	;; [unrolled: 1-line block ×3, first 2 shown]
	global_store_dwordx2 v11, v[8:9], s[56:57] offset:56
	s_and_saveexec_b64 s[22:23], s[12:13]
	s_cbranch_execz .LBB0_451
; %bb.444:                              ;   in Loop: Header=BB0_372 Depth=4
	global_load_dwordx2 v[52:53], v8, s[18:19] offset:32 glc
	global_load_dwordx2 v[10:11], v8, s[18:19] offset:40
	v_mov_b32_e32 v50, s54
	v_mov_b32_e32 v51, s55
	s_waitcnt vmcnt(0)
	v_and_b32_e32 v9, s54, v10
	v_and_b32_e32 v10, s55, v11
	v_mul_lo_u32 v10, v10, 24
	v_mul_hi_u32 v11, v9, 24
	v_mul_lo_u32 v9, v9, 24
	v_add_u32_e32 v11, v11, v10
	v_add_co_u32_e32 v10, vcc, v22, v9
	v_addc_co_u32_e32 v11, vcc, v23, v11, vcc
	global_store_dwordx2 v[10:11], v[52:53], off
	buffer_wbl2
	s_waitcnt vmcnt(0)
	global_atomic_cmpswap_x2 v[24:25], v8, v[50:53], s[18:19] offset:32 glc
	s_waitcnt vmcnt(0)
	v_cmp_ne_u64_e32 vcc, v[24:25], v[52:53]
	s_and_saveexec_b64 s[56:57], vcc
	s_cbranch_execz .LBB0_447
; %bb.445:                              ;   in Loop: Header=BB0_372 Depth=4
	s_mov_b64 s[58:59], 0
.LBB0_446:                              ;   Parent Loop BB0_3 Depth=1
                                        ;     Parent Loop BB0_6 Depth=2
                                        ;       Parent Loop BB0_340 Depth=3
                                        ;         Parent Loop BB0_372 Depth=4
                                        ; =>        This Inner Loop Header: Depth=5
	s_sleep 1
	global_store_dwordx2 v[10:11], v[24:25], off
	v_mov_b32_e32 v22, s54
	v_mov_b32_e32 v23, s55
	buffer_wbl2
	s_waitcnt vmcnt(0)
	global_atomic_cmpswap_x2 v[14:15], v8, v[22:25], s[18:19] offset:32 glc
	s_waitcnt vmcnt(0)
	v_cmp_eq_u64_e32 vcc, v[14:15], v[24:25]
	s_or_b64 s[58:59], vcc, s[58:59]
	v_pk_mov_b32 v[24:25], v[14:15], v[14:15] op_sel:[0,1]
	s_andn2_b64 exec, exec, s[58:59]
	s_cbranch_execnz .LBB0_446
.LBB0_447:                              ;   in Loop: Header=BB0_372 Depth=4
	s_or_b64 exec, exec, s[56:57]
	global_load_dwordx2 v[10:11], v8, s[18:19] offset:16
	s_mov_b64 s[58:59], exec
	v_mbcnt_lo_u32_b32 v9, s58, 0
	v_mbcnt_hi_u32_b32 v9, s59, v9
	v_cmp_eq_u32_e32 vcc, 0, v9
	s_and_saveexec_b64 s[56:57], vcc
	s_cbranch_execz .LBB0_449
; %bb.448:                              ;   in Loop: Header=BB0_372 Depth=4
	s_bcnt1_i32_b64 s20, s[58:59]
	v_mov_b32_e32 v14, s20
	v_mov_b32_e32 v15, v8
	buffer_wbl2
	s_waitcnt vmcnt(0)
	global_atomic_add_x2 v[10:11], v[14:15], off offset:8
.LBB0_449:                              ;   in Loop: Header=BB0_372 Depth=4
	s_or_b64 exec, exec, s[56:57]
	s_waitcnt vmcnt(0)
	global_load_dwordx2 v[14:15], v[10:11], off offset:16
	s_waitcnt vmcnt(0)
	v_cmp_eq_u64_e32 vcc, 0, v[14:15]
	s_cbranch_vccnz .LBB0_451
; %bb.450:                              ;   in Loop: Header=BB0_372 Depth=4
	global_load_dword v10, v[10:11], off offset:24
	v_mov_b32_e32 v11, v8
	s_waitcnt vmcnt(0)
	v_and_b32_e32 v9, 0xffffff, v10
	v_readfirstlane_b32 m0, v9
	buffer_wbl2
	global_store_dwordx2 v[14:15], v[10:11], off
	s_sendmsg sendmsg(MSG_INTERRUPT)
.LBB0_451:                              ;   in Loop: Header=BB0_372 Depth=4
	s_or_b64 exec, exec, s[22:23]
.LBB0_452:                              ;   Parent Loop BB0_3 Depth=1
                                        ;     Parent Loop BB0_6 Depth=2
                                        ;       Parent Loop BB0_340 Depth=3
                                        ;         Parent Loop BB0_372 Depth=4
                                        ; =>        This Inner Loop Header: Depth=5
	v_mov_b32_e32 v9, 1
	s_and_saveexec_b64 s[22:23], s[12:13]
	s_cbranch_execz .LBB0_454
; %bb.453:                              ;   in Loop: Header=BB0_452 Depth=5
	global_load_dword v9, v[6:7], off offset:20 glc
	s_waitcnt vmcnt(0)
	buffer_invl2
	buffer_wbinvl1_vol
	v_and_b32_e32 v9, 1, v9
.LBB0_454:                              ;   in Loop: Header=BB0_452 Depth=5
	s_or_b64 exec, exec, s[22:23]
	v_readfirstlane_b32 s20, v9
	s_cmp_eq_u32 s20, 0
	s_cbranch_scc1 .LBB0_456
; %bb.455:                              ;   in Loop: Header=BB0_452 Depth=5
	s_mov_b64 s[22:23], 0
	s_sleep 1
	s_branch .LBB0_457
.LBB0_456:                              ;   in Loop: Header=BB0_452 Depth=5
	s_mov_b64 s[22:23], -1
.LBB0_457:                              ;   in Loop: Header=BB0_452 Depth=5
	s_andn2_b64 vcc, exec, s[22:23]
	s_cbranch_vccnz .LBB0_452
; %bb.458:                              ;   in Loop: Header=BB0_372 Depth=4
	s_and_b64 exec, exec, s[12:13]
	s_cbranch_execz .LBB0_462
; %bb.459:                              ;   in Loop: Header=BB0_372 Depth=4
	global_load_dwordx2 v[6:7], v8, s[18:19] offset:40
	global_load_dwordx2 v[10:11], v8, s[18:19] offset:24 glc
	global_load_dwordx2 v[14:15], v8, s[18:19]
	v_mov_b32_e32 v9, s55
	s_waitcnt vmcnt(2)
	v_add_co_u32_e32 v17, vcc, 1, v6
	v_addc_co_u32_e32 v21, vcc, 0, v7, vcc
	v_add_co_u32_e32 v18, vcc, s54, v17
	v_addc_co_u32_e32 v19, vcc, v21, v9, vcc
	v_cmp_eq_u64_e32 vcc, 0, v[18:19]
	v_cndmask_b32_e32 v23, v19, v21, vcc
	v_cndmask_b32_e32 v22, v18, v17, vcc
	v_and_b32_e32 v7, v23, v7
	v_and_b32_e32 v6, v22, v6
	v_mul_lo_u32 v7, v7, 24
	v_mul_hi_u32 v9, v6, 24
	v_mul_lo_u32 v6, v6, 24
	v_add_u32_e32 v7, v9, v7
	s_waitcnt vmcnt(0)
	v_add_co_u32_e32 v6, vcc, v14, v6
	v_addc_co_u32_e32 v7, vcc, v15, v7, vcc
	v_mov_b32_e32 v24, v10
	global_store_dwordx2 v[6:7], v[10:11], off
	v_mov_b32_e32 v25, v11
	buffer_wbl2
	s_waitcnt vmcnt(0)
	global_atomic_cmpswap_x2 v[24:25], v8, v[22:25], s[18:19] offset:24 glc
	s_waitcnt vmcnt(0)
	v_cmp_ne_u64_e32 vcc, v[24:25], v[10:11]
	s_and_b64 exec, exec, vcc
	s_cbranch_execz .LBB0_462
; %bb.460:                              ;   in Loop: Header=BB0_372 Depth=4
	s_mov_b64 s[12:13], 0
.LBB0_461:                              ;   Parent Loop BB0_3 Depth=1
                                        ;     Parent Loop BB0_6 Depth=2
                                        ;       Parent Loop BB0_340 Depth=3
                                        ;         Parent Loop BB0_372 Depth=4
                                        ; =>        This Inner Loop Header: Depth=5
	s_sleep 1
	global_store_dwordx2 v[6:7], v[24:25], off
	buffer_wbl2
	s_waitcnt vmcnt(0)
	global_atomic_cmpswap_x2 v[10:11], v8, v[22:25], s[18:19] offset:24 glc
	s_waitcnt vmcnt(0)
	v_cmp_eq_u64_e32 vcc, v[10:11], v[24:25]
	s_or_b64 s[12:13], vcc, s[12:13]
	v_pk_mov_b32 v[24:25], v[10:11], v[10:11] op_sel:[0,1]
	s_andn2_b64 exec, exec, s[12:13]
	s_cbranch_execnz .LBB0_461
.LBB0_462:                              ;   in Loop: Header=BB0_372 Depth=4
	s_or_b64 exec, exec, s[14:15]
	s_mov_b32 s20, s60
.LBB0_463:                              ;   in Loop: Header=BB0_372 Depth=4
	s_mov_b32 s66, s20
.LBB0_464:                              ;   in Loop: Header=BB0_372 Depth=4
	s_mov_b32 s20, s66
.LBB0_465:                              ;   in Loop: Header=BB0_372 Depth=4
	s_cmp_eq_u32 s20, 0
	s_cselect_b64 s[12:13], -1, 0
	s_and_b64 vcc, exec, s[12:13]
	s_cbranch_vccnz .LBB0_484
; %bb.466:                              ;   in Loop: Header=BB0_372 Depth=4
	v_mbcnt_lo_u32_b32 v6, exec_lo, 0
	v_mbcnt_hi_u32_b32 v6, exec_hi, v6
	v_cmp_eq_u32_e32 vcc, 0, v6
	s_and_saveexec_b64 s[14:15], vcc
	s_cbranch_execz .LBB0_483
; %bb.467:                              ;   in Loop: Header=BB0_372 Depth=4
	global_load_dwordx2 v[6:7], v[48:49], off glc
	s_memrealtime s[16:17]
	s_waitcnt lgkmcnt(0)
	v_mov_b32_e32 v9, s17
	s_waitcnt vmcnt(0)
	v_sub_co_u32_e32 v6, vcc, s16, v6
	v_subb_co_u32_e32 v7, vcc, v9, v7, vcc
	v_cmp_gt_u64_e32 vcc, s[42:43], v[6:7]
	s_and_b64 exec, exec, vcc
	s_cbranch_execz .LBB0_483
; %bb.468:                              ;   in Loop: Header=BB0_372 Depth=4
	s_memrealtime s[18:19]
	v_sub_u32_e32 v6, 0x7530, v6
	v_readfirstlane_b32 s16, v6
	s_ashr_i32 s17, s16, 31
	s_waitcnt lgkmcnt(0)
	s_add_u32 s16, s18, s16
	s_addc_u32 s17, s19, s17
.LBB0_469:                              ;   Parent Loop BB0_3 Depth=1
                                        ;     Parent Loop BB0_6 Depth=2
                                        ;       Parent Loop BB0_340 Depth=3
                                        ;         Parent Loop BB0_372 Depth=4
                                        ; =>        This Inner Loop Header: Depth=5
	s_waitcnt lgkmcnt(0)
	s_add_u32 s22, s18, 0x659
	s_addc_u32 s23, s19, 0
	v_pk_mov_b32 v[6:7], s[22:23], s[22:23] op_sel:[0,1]
	v_cmp_le_u64_e32 vcc, s[16:17], v[6:7]
	s_cbranch_vccnz .LBB0_472
; %bb.470:                              ;   in Loop: Header=BB0_469 Depth=5
	s_sleep 0x7f
	s_memrealtime s[18:19]
	s_branch .LBB0_469
.LBB0_471:                              ;   in Loop: Header=BB0_472 Depth=5
	s_sleep 63
	s_memrealtime s[18:19]
.LBB0_472:                              ;   Parent Loop BB0_3 Depth=1
                                        ;     Parent Loop BB0_6 Depth=2
                                        ;       Parent Loop BB0_340 Depth=3
                                        ;         Parent Loop BB0_372 Depth=4
                                        ; =>        This Inner Loop Header: Depth=5
	s_waitcnt lgkmcnt(0)
	s_add_u32 s22, s18, 0x326
	s_addc_u32 s23, s19, 0
	v_pk_mov_b32 v[6:7], s[22:23], s[22:23] op_sel:[0,1]
	v_cmp_le_u64_e32 vcc, s[16:17], v[6:7]
	s_cbranch_vccz .LBB0_471
; %bb.473:                              ;   in Loop: Header=BB0_372 Depth=4
	s_add_u32 s22, s18, 0x18c
	s_addc_u32 s23, s19, 0
	v_pk_mov_b32 v[6:7], s[22:23], s[22:23] op_sel:[0,1]
	v_cmp_le_u64_e32 vcc, s[16:17], v[6:7]
	s_cbranch_vccnz .LBB0_476
.LBB0_474:                              ;   Parent Loop BB0_3 Depth=1
                                        ;     Parent Loop BB0_6 Depth=2
                                        ;       Parent Loop BB0_340 Depth=3
                                        ;         Parent Loop BB0_372 Depth=4
                                        ; =>        This Inner Loop Header: Depth=5
	s_sleep 31
	s_memrealtime s[18:19]
	s_waitcnt lgkmcnt(0)
	s_add_u32 s22, s18, 0x18c
	s_addc_u32 s23, s19, 0
	v_pk_mov_b32 v[6:7], s[22:23], s[22:23] op_sel:[0,1]
	v_cmp_gt_u64_e32 vcc, s[16:17], v[6:7]
	s_cbranch_vccnz .LBB0_474
	s_branch .LBB0_476
.LBB0_475:                              ;   in Loop: Header=BB0_476 Depth=5
	s_sleep 15
	s_memrealtime s[18:19]
.LBB0_476:                              ;   Parent Loop BB0_3 Depth=1
                                        ;     Parent Loop BB0_6 Depth=2
                                        ;       Parent Loop BB0_340 Depth=3
                                        ;         Parent Loop BB0_372 Depth=4
                                        ; =>        This Inner Loop Header: Depth=5
	s_waitcnt lgkmcnt(0)
	s_add_u32 s22, s18, 0xc0
	s_addc_u32 s23, s19, 0
	v_pk_mov_b32 v[6:7], s[22:23], s[22:23] op_sel:[0,1]
	v_cmp_le_u64_e32 vcc, s[16:17], v[6:7]
	s_cbranch_vccz .LBB0_475
	s_branch .LBB0_478
.LBB0_477:                              ;   in Loop: Header=BB0_478 Depth=5
	s_sleep 7
	s_memrealtime s[18:19]
.LBB0_478:                              ;   Parent Loop BB0_3 Depth=1
                                        ;     Parent Loop BB0_6 Depth=2
                                        ;       Parent Loop BB0_340 Depth=3
                                        ;         Parent Loop BB0_372 Depth=4
                                        ; =>        This Inner Loop Header: Depth=5
	s_waitcnt lgkmcnt(0)
	s_add_u32 s22, s18, 0x59
	s_addc_u32 s23, s19, 0
	v_pk_mov_b32 v[6:7], s[22:23], s[22:23] op_sel:[0,1]
	v_cmp_le_u64_e32 vcc, s[16:17], v[6:7]
	s_cbranch_vccz .LBB0_477
	;; [unrolled: 15-line block ×3, first 2 shown]
; %bb.481:                              ;   in Loop: Header=BB0_372 Depth=4
	v_pk_mov_b32 v[6:7], s[18:19], s[18:19] op_sel:[0,1]
	v_cmp_le_u64_e32 vcc, s[16:17], v[6:7]
	s_cbranch_vccnz .LBB0_483
.LBB0_482:                              ;   Parent Loop BB0_3 Depth=1
                                        ;     Parent Loop BB0_6 Depth=2
                                        ;       Parent Loop BB0_340 Depth=3
                                        ;         Parent Loop BB0_372 Depth=4
                                        ; =>        This Inner Loop Header: Depth=5
	s_sleep 1
	s_memrealtime s[18:19]
	s_waitcnt lgkmcnt(0)
	v_pk_mov_b32 v[6:7], s[18:19], s[18:19] op_sel:[0,1]
	v_cmp_gt_u64_e32 vcc, s[16:17], v[6:7]
	s_cbranch_vccnz .LBB0_482
.LBB0_483:                              ;   in Loop: Header=BB0_372 Depth=4
	s_or_b64 exec, exec, s[14:15]
	s_cmp_lg_u32 s20, 2
	s_cselect_b64 s[14:15], -1, 0
	v_cndmask_b32_e64 v6, 0, 1, s[14:15]
	v_readfirstlane_b32 s20, v6
	s_mov_b64 s[16:17], s[20:21]
.LBB0_484:                              ;   in Loop: Header=BB0_372 Depth=4
	s_mov_b64 s[18:19], 0
	s_branch .LBB0_487
.LBB0_485:                              ;   in Loop: Header=BB0_372 Depth=4
	s_mov_b64 s[18:19], 0
	s_mov_b64 s[16:17], 0
	s_branch .LBB0_495
.LBB0_486:                              ;   in Loop: Header=BB0_372 Depth=4
                                        ; implicit-def: $sgpr18_sgpr19
.LBB0_487:                              ;   in Loop: Header=BB0_372 Depth=4
	s_and_b64 vcc, exec, s[12:13]
	s_cbranch_vccz .LBB0_495
; %bb.488:                              ;   in Loop: Header=BB0_372 Depth=4
	v_mov_b32_e32 v6, 1
	v_mov_b32_e32 v7, 0
	s_and_saveexec_b64 s[12:13], s[10:11]
	s_cbranch_execz .LBB0_492
; %bb.489:                              ;   in Loop: Header=BB0_372 Depth=4
	global_load_dwordx2 v[24:25], v[38:39], off glc
	s_memrealtime s[18:19]
	s_waitcnt lgkmcnt(0)
	v_mov_b32_e32 v7, s19
	s_waitcnt vmcnt(0)
	v_sub_co_u32_e32 v6, vcc, s18, v24
	v_subb_co_u32_e32 v7, vcc, v7, v25, vcc
	v_cmp_lt_u64_e32 vcc, s[44:45], v[6:7]
	v_mov_b32_e32 v6, 1
	v_mov_b32_e32 v7, 0
	s_and_saveexec_b64 s[14:15], vcc
	s_cbranch_execz .LBB0_491
; %bb.490:                              ;   in Loop: Header=BB0_372 Depth=4
	v_mov_b32_e32 v22, s18
	v_mov_b32_e32 v23, s19
	global_atomic_cmpswap_x2 v[6:7], v[38:39], v[22:25], off glc
	s_waitcnt vmcnt(0)
	v_cmp_ne_u64_e32 vcc, v[6:7], v[24:25]
	v_cndmask_b32_e64 v6, 0, 1, vcc
	v_mov_b32_e32 v7, s21
.LBB0_491:                              ;   in Loop: Header=BB0_372 Depth=4
	s_or_b64 exec, exec, s[14:15]
.LBB0_492:                              ;   in Loop: Header=BB0_372 Depth=4
	s_or_b64 exec, exec, s[12:13]
	v_readfirstlane_b32 s12, v6
	v_readfirstlane_b32 s13, v7
	s_cmp_lg_u64 s[12:13], 0
	s_cbranch_scc0 .LBB0_496
.LBB0_493:                              ;   in Loop: Header=BB0_372 Depth=4
	s_mov_b64 s[18:19], 0
.LBB0_494:                              ;   in Loop: Header=BB0_372 Depth=4
	s_mov_b64 s[16:17], s[12:13]
.LBB0_495:                              ;   in Loop: Header=BB0_372 Depth=4
	s_xor_b64 s[12:13], s[18:19], -1
	s_andn2_b64 vcc, exec, s[12:13]
	s_cbranch_vccnz .LBB0_372
	s_branch .LBB0_605
.LBB0_496:                              ;   in Loop: Header=BB0_372 Depth=4
	v_pk_mov_b32 v[6:7], 0, 0
	s_and_saveexec_b64 s[14:15], s[10:11]
	s_cbranch_execz .LBB0_532
; %bb.497:                              ;   in Loop: Header=BB0_372 Depth=4
	global_load_dwordx2 v[6:7], v8, s[34:35] glc
	global_load_dwordx2 v[10:11], v8, s[36:37]
	s_waitcnt vmcnt(0)
	v_cmp_ge_u64_e32 vcc, v[6:7], v[10:11]
	s_cbranch_vccnz .LBB0_501
; %bb.498:                              ;   in Loop: Header=BB0_372 Depth=4
	s_mov_b64 s[18:19], exec
	v_mbcnt_lo_u32_b32 v6, s18, 0
	v_mbcnt_hi_u32_b32 v9, s19, v6
	v_cmp_eq_u32_e32 vcc, 0, v9
                                        ; implicit-def: $vgpr6_vgpr7
	s_and_saveexec_b64 s[12:13], vcc
	s_cbranch_execz .LBB0_500
; %bb.499:                              ;   in Loop: Header=BB0_372 Depth=4
	s_bcnt1_i32_b64 s18, s[18:19]
	s_lshl_b32 s18, s18, 21
	v_mov_b32_e32 v6, s18
	v_mov_b32_e32 v7, v8
	global_atomic_add_x2 v[6:7], v8, v[6:7], s[34:35] glc
.LBB0_500:                              ;   in Loop: Header=BB0_372 Depth=4
	s_or_b64 exec, exec, s[12:13]
	s_waitcnt vmcnt(0)
	v_readfirstlane_b32 s12, v7
	v_readfirstlane_b32 s13, v6
	v_mov_b32_e32 v6, s13
	v_mov_b32_e32 v7, s12
	v_mad_u64_u32 v[6:7], s[12:13], v9, s86, v[6:7]
	v_cmp_ge_u64_e64 s[12:13], v[6:7], v[10:11]
	s_branch .LBB0_502
.LBB0_501:                              ;   in Loop: Header=BB0_372 Depth=4
	s_mov_b64 s[12:13], -1
                                        ; implicit-def: $vgpr6_vgpr7
.LBB0_502:                              ;   in Loop: Header=BB0_372 Depth=4
	s_and_saveexec_b64 s[18:19], s[12:13]
	s_cbranch_execz .LBB0_531
; %bb.503:                              ;   in Loop: Header=BB0_372 Depth=4
	s_load_dwordx2 s[54:55], s[8:9], 0x50
	v_readfirstlane_b32 s12, v32
	v_cmp_eq_u32_e64 s[12:13], s12, v32
	v_pk_mov_b32 v[6:7], 0, 0
	s_and_saveexec_b64 s[22:23], s[12:13]
	s_cbranch_execz .LBB0_509
; %bb.504:                              ;   in Loop: Header=BB0_372 Depth=4
	s_waitcnt lgkmcnt(0)
	global_load_dwordx2 v[24:25], v8, s[54:55] offset:24 glc
	s_waitcnt vmcnt(0)
	buffer_invl2
	buffer_wbinvl1_vol
	global_load_dwordx2 v[6:7], v8, s[54:55] offset:40
	global_load_dwordx2 v[10:11], v8, s[54:55]
	s_waitcnt vmcnt(1)
	v_and_b32_e32 v6, v6, v24
	v_and_b32_e32 v7, v7, v25
	v_mul_lo_u32 v7, v7, 24
	v_mul_hi_u32 v9, v6, 24
	v_mul_lo_u32 v6, v6, 24
	v_add_u32_e32 v7, v9, v7
	s_waitcnt vmcnt(0)
	v_add_co_u32_e32 v6, vcc, v10, v6
	v_addc_co_u32_e32 v7, vcc, v11, v7, vcc
	global_load_dwordx2 v[22:23], v[6:7], off glc
	s_waitcnt vmcnt(0)
	global_atomic_cmpswap_x2 v[6:7], v8, v[22:25], s[54:55] offset:24 glc
	s_waitcnt vmcnt(0)
	buffer_invl2
	buffer_wbinvl1_vol
	v_cmp_ne_u64_e32 vcc, v[6:7], v[24:25]
	s_and_saveexec_b64 s[56:57], vcc
	s_cbranch_execz .LBB0_508
; %bb.505:                              ;   in Loop: Header=BB0_372 Depth=4
	s_mov_b64 s[58:59], 0
.LBB0_506:                              ;   Parent Loop BB0_3 Depth=1
                                        ;     Parent Loop BB0_6 Depth=2
                                        ;       Parent Loop BB0_340 Depth=3
                                        ;         Parent Loop BB0_372 Depth=4
                                        ; =>        This Inner Loop Header: Depth=5
	s_sleep 1
	global_load_dwordx2 v[10:11], v8, s[54:55] offset:40
	global_load_dwordx2 v[14:15], v8, s[54:55]
	v_pk_mov_b32 v[24:25], v[6:7], v[6:7] op_sel:[0,1]
	s_waitcnt vmcnt(1)
	v_and_b32_e32 v6, v10, v24
	s_waitcnt vmcnt(0)
	v_mad_u64_u32 v[6:7], vcc, v6, 24, v[14:15]
	v_and_b32_e32 v9, v11, v25
	v_mov_b32_e32 v10, v7
	v_mad_u64_u32 v[10:11], vcc, v9, 24, v[10:11]
	v_mov_b32_e32 v7, v10
	global_load_dwordx2 v[22:23], v[6:7], off glc
	s_waitcnt vmcnt(0)
	global_atomic_cmpswap_x2 v[6:7], v8, v[22:25], s[54:55] offset:24 glc
	s_waitcnt vmcnt(0)
	buffer_invl2
	buffer_wbinvl1_vol
	v_cmp_eq_u64_e32 vcc, v[6:7], v[24:25]
	s_or_b64 s[58:59], vcc, s[58:59]
	s_andn2_b64 exec, exec, s[58:59]
	s_cbranch_execnz .LBB0_506
; %bb.507:                              ;   in Loop: Header=BB0_372 Depth=4
	s_or_b64 exec, exec, s[58:59]
.LBB0_508:                              ;   in Loop: Header=BB0_372 Depth=4
	s_or_b64 exec, exec, s[56:57]
.LBB0_509:                              ;   in Loop: Header=BB0_372 Depth=4
	s_or_b64 exec, exec, s[22:23]
	s_waitcnt lgkmcnt(0)
	global_load_dwordx2 v[10:11], v8, s[54:55] offset:40
	global_load_dwordx4 v[22:25], v8, s[54:55]
	v_readfirstlane_b32 s56, v6
	v_readfirstlane_b32 s57, v7
	s_mov_b64 s[22:23], exec
	s_waitcnt vmcnt(1)
	v_readfirstlane_b32 vcc_lo, v10
	v_readfirstlane_b32 vcc_hi, v11
	s_and_b64 s[58:59], s[56:57], vcc
	s_mul_i32 s20, s59, 24
	s_mul_hi_u32 vcc_lo, s58, 24
	s_mul_i32 vcc_hi, s58, 24
	s_add_i32 s20, vcc_lo, s20
	v_mov_b32_e32 v7, s20
	s_waitcnt vmcnt(0)
	v_add_co_u32_e32 v6, vcc, vcc_hi, v22
	v_addc_co_u32_e32 v7, vcc, v23, v7, vcc
	s_and_saveexec_b64 vcc, s[12:13]
	s_cbranch_execz .LBB0_511
; %bb.510:                              ;   in Loop: Header=BB0_372 Depth=4
	v_pk_mov_b32 v[10:11], s[22:23], s[22:23] op_sel:[0,1]
	global_store_dwordx4 v[6:7], v[10:13], off offset:8
.LBB0_511:                              ;   in Loop: Header=BB0_372 Depth=4
	s_or_b64 exec, exec, vcc
	s_lshl_b64 s[22:23], s[58:59], 12
	v_mov_b32_e32 v9, s23
	v_add_co_u32_e32 v10, vcc, s22, v24
	s_mov_b32 s22, s21
	s_mov_b32 s23, s21
	v_addc_co_u32_e32 v9, vcc, v25, v9, vcc
	s_mov_b32 s20, s21
	v_pk_mov_b32 v[52:53], s[22:23], s[22:23] op_sel:[0,1]
	v_lshlrev_b32_e32 v11, 6, v32
	v_mov_b32_e32 v18, v8
	v_mov_b32_e32 v19, v8
	;; [unrolled: 1-line block ×3, first 2 shown]
	v_readfirstlane_b32 s58, v10
	v_readfirstlane_b32 s59, v9
	v_pk_mov_b32 v[50:51], s[20:21], s[20:21] op_sel:[0,1]
	s_nop 3
	global_store_dwordx4 v11, v[18:21], s[58:59]
	global_store_dwordx4 v11, v[50:53], s[58:59] offset:16
	global_store_dwordx4 v11, v[50:53], s[58:59] offset:32
	global_store_dwordx4 v11, v[50:53], s[58:59] offset:48
	s_and_saveexec_b64 s[22:23], s[12:13]
	s_cbranch_execz .LBB0_519
; %bb.512:                              ;   in Loop: Header=BB0_372 Depth=4
	global_load_dwordx2 v[52:53], v8, s[54:55] offset:32 glc
	global_load_dwordx2 v[14:15], v8, s[54:55] offset:40
	v_mov_b32_e32 v50, s56
	v_mov_b32_e32 v51, s57
	s_waitcnt vmcnt(0)
	v_and_b32_e32 v14, s56, v14
	v_and_b32_e32 v15, s57, v15
	v_mul_lo_u32 v15, v15, 24
	v_mul_hi_u32 v17, v14, 24
	v_mul_lo_u32 v14, v14, 24
	v_add_u32_e32 v15, v17, v15
	v_add_co_u32_e32 v14, vcc, v22, v14
	v_addc_co_u32_e32 v15, vcc, v23, v15, vcc
	global_store_dwordx2 v[14:15], v[52:53], off
	buffer_wbl2
	s_waitcnt vmcnt(0)
	global_atomic_cmpswap_x2 v[24:25], v8, v[50:53], s[54:55] offset:32 glc
	s_waitcnt vmcnt(0)
	v_cmp_ne_u64_e32 vcc, v[24:25], v[52:53]
	s_and_saveexec_b64 s[58:59], vcc
	s_cbranch_execz .LBB0_515
; %bb.513:                              ;   in Loop: Header=BB0_372 Depth=4
	s_mov_b64 s[60:61], 0
.LBB0_514:                              ;   Parent Loop BB0_3 Depth=1
                                        ;     Parent Loop BB0_6 Depth=2
                                        ;       Parent Loop BB0_340 Depth=3
                                        ;         Parent Loop BB0_372 Depth=4
                                        ; =>        This Inner Loop Header: Depth=5
	s_sleep 1
	global_store_dwordx2 v[14:15], v[24:25], off
	v_mov_b32_e32 v22, s56
	v_mov_b32_e32 v23, s57
	buffer_wbl2
	s_waitcnt vmcnt(0)
	global_atomic_cmpswap_x2 v[18:19], v8, v[22:25], s[54:55] offset:32 glc
	s_waitcnt vmcnt(0)
	v_cmp_eq_u64_e32 vcc, v[18:19], v[24:25]
	s_or_b64 s[60:61], vcc, s[60:61]
	v_pk_mov_b32 v[24:25], v[18:19], v[18:19] op_sel:[0,1]
	s_andn2_b64 exec, exec, s[60:61]
	s_cbranch_execnz .LBB0_514
.LBB0_515:                              ;   in Loop: Header=BB0_372 Depth=4
	s_or_b64 exec, exec, s[58:59]
	global_load_dwordx2 v[14:15], v8, s[54:55] offset:16
	s_mov_b64 s[60:61], exec
	v_mbcnt_lo_u32_b32 v17, s60, 0
	v_mbcnt_hi_u32_b32 v17, s61, v17
	v_cmp_eq_u32_e32 vcc, 0, v17
	s_and_saveexec_b64 s[58:59], vcc
	s_cbranch_execz .LBB0_517
; %bb.516:                              ;   in Loop: Header=BB0_372 Depth=4
	s_bcnt1_i32_b64 s20, s[60:61]
	v_mov_b32_e32 v18, s20
	v_mov_b32_e32 v19, v8
	buffer_wbl2
	s_waitcnt vmcnt(0)
	global_atomic_add_x2 v[14:15], v[18:19], off offset:8
.LBB0_517:                              ;   in Loop: Header=BB0_372 Depth=4
	s_or_b64 exec, exec, s[58:59]
	s_waitcnt vmcnt(0)
	global_load_dwordx2 v[18:19], v[14:15], off offset:16
	s_waitcnt vmcnt(0)
	v_cmp_eq_u64_e32 vcc, 0, v[18:19]
	s_cbranch_vccnz .LBB0_519
; %bb.518:                              ;   in Loop: Header=BB0_372 Depth=4
	global_load_dword v14, v[14:15], off offset:24
	v_mov_b32_e32 v15, v8
	buffer_wbl2
	s_waitcnt vmcnt(0)
	global_store_dwordx2 v[18:19], v[14:15], off
	v_and_b32_e32 v14, 0xffffff, v14
	v_readfirstlane_b32 m0, v14
	s_sendmsg sendmsg(MSG_INTERRUPT)
.LBB0_519:                              ;   in Loop: Header=BB0_372 Depth=4
	s_or_b64 exec, exec, s[22:23]
	v_add_co_u32_e32 v10, vcc, v10, v11
	v_addc_co_u32_e32 v11, vcc, 0, v9, vcc
.LBB0_520:                              ;   Parent Loop BB0_3 Depth=1
                                        ;     Parent Loop BB0_6 Depth=2
                                        ;       Parent Loop BB0_340 Depth=3
                                        ;         Parent Loop BB0_372 Depth=4
                                        ; =>        This Inner Loop Header: Depth=5
	v_mov_b32_e32 v9, 1
	s_and_saveexec_b64 s[22:23], s[12:13]
	s_cbranch_execz .LBB0_522
; %bb.521:                              ;   in Loop: Header=BB0_520 Depth=5
	global_load_dword v9, v[6:7], off offset:20 glc
	s_waitcnt vmcnt(0)
	buffer_invl2
	buffer_wbinvl1_vol
	v_and_b32_e32 v9, 1, v9
.LBB0_522:                              ;   in Loop: Header=BB0_520 Depth=5
	s_or_b64 exec, exec, s[22:23]
	v_readfirstlane_b32 s20, v9
	s_cmp_eq_u32 s20, 0
	s_cbranch_scc1 .LBB0_524
; %bb.523:                              ;   in Loop: Header=BB0_520 Depth=5
	s_mov_b64 s[22:23], 0
	s_sleep 1
	s_branch .LBB0_525
.LBB0_524:                              ;   in Loop: Header=BB0_520 Depth=5
	s_mov_b64 s[22:23], -1
.LBB0_525:                              ;   in Loop: Header=BB0_520 Depth=5
	s_andn2_b64 vcc, exec, s[22:23]
	s_cbranch_vccnz .LBB0_520
; %bb.526:                              ;   in Loop: Header=BB0_372 Depth=4
	global_load_dwordx2 v[6:7], v[10:11], off
	s_and_saveexec_b64 s[22:23], s[12:13]
	s_cbranch_execz .LBB0_530
; %bb.527:                              ;   in Loop: Header=BB0_372 Depth=4
	global_load_dwordx2 v[10:11], v8, s[54:55] offset:40
	global_load_dwordx2 v[14:15], v8, s[54:55] offset:24 glc
	global_load_dwordx2 v[18:19], v8, s[54:55]
	v_mov_b32_e32 v9, s57
	s_waitcnt vmcnt(2)
	v_add_co_u32_e32 v17, vcc, 1, v10
	v_addc_co_u32_e32 v21, vcc, 0, v11, vcc
	v_add_co_u32_e32 v22, vcc, s56, v17
	v_addc_co_u32_e32 v23, vcc, v21, v9, vcc
	v_cmp_eq_u64_e32 vcc, 0, v[22:23]
	v_cndmask_b32_e32 v23, v23, v21, vcc
	v_cndmask_b32_e32 v22, v22, v17, vcc
	v_and_b32_e32 v9, v23, v11
	v_and_b32_e32 v10, v22, v10
	v_mul_lo_u32 v9, v9, 24
	v_mul_hi_u32 v11, v10, 24
	v_mul_lo_u32 v10, v10, 24
	v_add_u32_e32 v9, v11, v9
	s_waitcnt vmcnt(0)
	v_add_co_u32_e32 v10, vcc, v18, v10
	v_addc_co_u32_e32 v11, vcc, v19, v9, vcc
	v_mov_b32_e32 v24, v14
	global_store_dwordx2 v[10:11], v[14:15], off
	v_mov_b32_e32 v25, v15
	buffer_wbl2
	s_waitcnt vmcnt(0)
	global_atomic_cmpswap_x2 v[24:25], v8, v[22:25], s[54:55] offset:24 glc
	s_waitcnt vmcnt(0)
	v_cmp_ne_u64_e32 vcc, v[24:25], v[14:15]
	s_and_b64 exec, exec, vcc
	s_cbranch_execz .LBB0_530
; %bb.528:                              ;   in Loop: Header=BB0_372 Depth=4
	s_mov_b64 s[12:13], 0
.LBB0_529:                              ;   Parent Loop BB0_3 Depth=1
                                        ;     Parent Loop BB0_6 Depth=2
                                        ;       Parent Loop BB0_340 Depth=3
                                        ;         Parent Loop BB0_372 Depth=4
                                        ; =>        This Inner Loop Header: Depth=5
	s_sleep 1
	global_store_dwordx2 v[10:11], v[24:25], off
	buffer_wbl2
	s_waitcnt vmcnt(0)
	global_atomic_cmpswap_x2 v[14:15], v8, v[22:25], s[54:55] offset:24 glc
	s_waitcnt vmcnt(0)
	v_cmp_eq_u64_e32 vcc, v[14:15], v[24:25]
	s_or_b64 s[12:13], vcc, s[12:13]
	v_pk_mov_b32 v[24:25], v[14:15], v[14:15] op_sel:[0,1]
	s_andn2_b64 exec, exec, s[12:13]
	s_cbranch_execnz .LBB0_529
.LBB0_530:                              ;   in Loop: Header=BB0_372 Depth=4
	s_or_b64 exec, exec, s[22:23]
.LBB0_531:                              ;   in Loop: Header=BB0_372 Depth=4
	s_or_b64 exec, exec, s[18:19]
.LBB0_532:                              ;   in Loop: Header=BB0_372 Depth=4
	s_or_b64 exec, exec, s[14:15]
	s_waitcnt vmcnt(0)
	v_readfirstlane_b32 s14, v6
	v_readfirstlane_b32 s15, v7
	s_cmp_eq_u64 s[14:15], 0
	s_mov_b64 s[12:13], 0
	s_cbranch_scc1 .LBB0_493
; %bb.533:                              ;   in Loop: Header=BB0_372 Depth=4
	global_load_dword v10, v[34:35], off
	v_mbcnt_lo_u32_b32 v6, exec_lo, 0
	v_mbcnt_hi_u32_b32 v11, exec_hi, v6
	s_bcnt1_i32_b64 s20, exec
	s_waitcnt vmcnt(0)
	v_add_u32_e32 v6, 31, v10
	v_lshrrev_b32_e32 v9, 5, v6
	s_and_saveexec_b64 s[12:13], s[4:5]
	s_xor_b64 s[18:19], exec, s[12:13]
	s_cbranch_execz .LBB0_541
; %bb.534:                              ;   in Loop: Header=BB0_372 Depth=4
	global_load_dword v14, v[54:55], off
	v_cmp_lt_u32_e32 vcc, v11, v9
	s_and_saveexec_b64 s[22:23], vcc
	s_cbranch_execz .LBB0_537
; %bb.535:                              ;   in Loop: Header=BB0_372 Depth=4
	s_add_u32 s12, s14, 16
	s_addc_u32 s13, s15, 0
	v_lshlrev_b32_e32 v6, 2, v11
	v_mov_b32_e32 v7, s13
	v_add_co_u32_e32 v6, vcc, s12, v6
	v_addc_co_u32_e32 v7, vcc, 0, v7, vcc
	s_lshl_b32 s56, s20, 2
	s_mov_b64 s[54:55], 0
	v_mov_b32_e32 v15, v11
.LBB0_536:                              ;   Parent Loop BB0_3 Depth=1
                                        ;     Parent Loop BB0_6 Depth=2
                                        ;       Parent Loop BB0_340 Depth=3
                                        ;         Parent Loop BB0_372 Depth=4
                                        ; =>        This Inner Loop Header: Depth=5
	v_add_u32_e32 v15, s20, v15
	global_store_dword v[6:7], v8, off
	v_mov_b32_e32 v17, s21
	v_add_co_u32_e32 v6, vcc, s56, v6
	v_cmp_ge_u32_e64 s[12:13], v15, v9
	s_or_b64 s[54:55], s[12:13], s[54:55]
	v_addc_co_u32_e32 v7, vcc, v7, v17, vcc
	s_andn2_b64 exec, exec, s[54:55]
	s_cbranch_execnz .LBB0_536
.LBB0_537:                              ;   in Loop: Header=BB0_372 Depth=4
	s_or_b64 exec, exec, s[22:23]
	global_load_dword v6, v[42:43], off
	s_waitcnt vmcnt(0)
	v_mad_u64_u32 v[6:7], s[12:13], v14, v11, v[6:7]
	v_cmp_lt_u32_e32 vcc, v6, v10
	s_and_saveexec_b64 s[12:13], vcc
	s_cbranch_execz .LBB0_540
; %bb.538:                              ;   in Loop: Header=BB0_372 Depth=4
	s_add_u32 s22, s14, 16
	v_mul_lo_u32 v7, v14, s20
	s_addc_u32 s23, s15, 0
	s_mov_b64 s[54:55], 0
.LBB0_539:                              ;   Parent Loop BB0_3 Depth=1
                                        ;     Parent Loop BB0_6 Depth=2
                                        ;       Parent Loop BB0_340 Depth=3
                                        ;         Parent Loop BB0_372 Depth=4
                                        ; =>        This Inner Loop Header: Depth=5
	v_lshlrev_b32_e64 v14, v6, 1
	v_lshrrev_b32_e32 v15, 3, v6
	v_add_u32_e32 v6, v6, v7
	v_cmp_ge_u32_e32 vcc, v6, v10
	v_and_b32_e32 v15, 0x1ffffffc, v15
	s_or_b64 s[54:55], vcc, s[54:55]
	global_store_dword v15, v14, s[22:23]
	s_andn2_b64 exec, exec, s[54:55]
	s_cbranch_execnz .LBB0_539
.LBB0_540:                              ;   in Loop: Header=BB0_372 Depth=4
	s_or_b64 exec, exec, s[12:13]
.LBB0_541:                              ;   in Loop: Header=BB0_372 Depth=4
	s_andn2_saveexec_b64 s[18:19], s[18:19]
	s_cbranch_execz .LBB0_546
; %bb.542:                              ;   in Loop: Header=BB0_372 Depth=4
	v_cmp_lt_u32_e32 vcc, v11, v9
	s_and_saveexec_b64 s[22:23], vcc
	s_cbranch_execz .LBB0_545
; %bb.543:                              ;   in Loop: Header=BB0_372 Depth=4
	v_accvgpr_read_b32 v6, a12
	v_accvgpr_read_b32 v7, a13
	global_load_dword v14, v[6:7], off
	s_add_u32 s12, s14, 16
	s_addc_u32 s13, s15, 0
	v_lshlrev_b32_e32 v6, 2, v11
	v_mov_b32_e32 v7, s13
	v_add_co_u32_e32 v6, vcc, s12, v6
	v_addc_co_u32_e32 v7, vcc, 0, v7, vcc
	s_lshl_b32 s56, s20, 2
	s_mov_b64 s[54:55], 0
	v_mov_b32_e32 v15, v11
	s_waitcnt vmcnt(0)
.LBB0_544:                              ;   Parent Loop BB0_3 Depth=1
                                        ;     Parent Loop BB0_6 Depth=2
                                        ;       Parent Loop BB0_340 Depth=3
                                        ;         Parent Loop BB0_372 Depth=4
                                        ; =>        This Inner Loop Header: Depth=5
	v_add_u32_e32 v15, s20, v15
	global_store_dword v[6:7], v14, off
	v_mov_b32_e32 v17, s21
	v_add_co_u32_e32 v6, vcc, s56, v6
	v_cmp_ge_u32_e64 s[12:13], v15, v9
	s_or_b64 s[54:55], s[12:13], s[54:55]
	v_addc_co_u32_e32 v7, vcc, v7, v17, vcc
	s_andn2_b64 exec, exec, s[54:55]
	s_cbranch_execnz .LBB0_544
.LBB0_545:                              ;   in Loop: Header=BB0_372 Depth=4
	s_or_b64 exec, exec, s[22:23]
.LBB0_546:                              ;   in Loop: Header=BB0_372 Depth=4
	s_or_b64 exec, exec, s[18:19]
	v_cmp_eq_u32_e32 vcc, 0, v11
	s_and_saveexec_b64 s[12:13], vcc
	s_cbranch_execz .LBB0_550
; %bb.547:                              ;   in Loop: Header=BB0_372 Depth=4
	v_and_b32_e32 v6, 31, v10
	v_cmp_ne_u32_e32 vcc, 0, v6
	s_and_saveexec_b64 s[18:19], vcc
	s_cbranch_execz .LBB0_549
; %bb.548:                              ;   in Loop: Header=BB0_372 Depth=4
	v_add_u32_e32 v10, -1, v9
	v_mov_b32_e32 v11, v8
	v_lshlrev_b64 v[10:11], 2, v[10:11]
	v_mov_b32_e32 v7, s15
	v_add_co_u32_e32 v10, vcc, s14, v10
	v_addc_co_u32_e32 v11, vcc, v7, v11, vcc
	global_load_dword v7, v[10:11], off offset:16
	s_waitcnt vmcnt(0)
	v_lshl_or_b32 v6, -1, v6, v7
	global_store_dword v[10:11], v6, off offset:16
.LBB0_549:                              ;   in Loop: Header=BB0_372 Depth=4
	s_or_b64 exec, exec, s[18:19]
	global_store_dwordx4 v8, v[2:5], s[14:15]
.LBB0_550:                              ;   in Loop: Header=BB0_372 Depth=4
	s_or_b64 exec, exec, s[12:13]
.LBB0_551:                              ;   Parent Loop BB0_3 Depth=1
                                        ;     Parent Loop BB0_6 Depth=2
                                        ;       Parent Loop BB0_340 Depth=3
                                        ;         Parent Loop BB0_372 Depth=4
                                        ; =>        This Inner Loop Header: Depth=5
	v_mov_b32_e32 v6, s63
	s_and_saveexec_b64 s[12:13], s[10:11]
	s_cbranch_execz .LBB0_553
; %bb.552:                              ;   in Loop: Header=BB0_551 Depth=5
	global_load_dword v6, v[30:31], off offset:2048 glc
.LBB0_553:                              ;   in Loop: Header=BB0_551 Depth=5
	s_or_b64 exec, exec, s[12:13]
	s_waitcnt vmcnt(0)
	v_readfirstlane_b32 s63, v6
	s_cmp_eq_u32 s63, 0x10100
	s_cbranch_scc1 .LBB0_560
; %bb.554:                              ;   in Loop: Header=BB0_551 Depth=5
	v_mov_b32_e32 v6, s64
	s_and_saveexec_b64 s[12:13], s[10:11]
	s_cbranch_execz .LBB0_556
; %bb.555:                              ;   in Loop: Header=BB0_551 Depth=5
	global_load_dword v6, v[36:37], off glc
.LBB0_556:                              ;   in Loop: Header=BB0_551 Depth=5
	s_or_b64 exec, exec, s[12:13]
	s_waitcnt vmcnt(0)
	v_readfirstlane_b32 s64, v6
	s_mov_b64 s[18:19], -1
	s_cmp_lg_u32 s63, s64
	s_mov_b64 s[22:23], -1
                                        ; implicit-def: $sgpr12_sgpr13
	s_cbranch_scc0 .LBB0_570
; %bb.557:                              ;   in Loop: Header=BB0_551 Depth=5
	v_pk_mov_b32 v[6:7], 0, 0
	s_and_saveexec_b64 s[12:13], s[10:11]
	s_cbranch_execz .LBB0_567
; %bb.558:                              ;   in Loop: Header=BB0_551 Depth=5
	s_cmpk_lt_u32 s63, 0x100
	s_cbranch_scc0 .LBB0_561
; %bb.559:                              ;   in Loop: Header=BB0_551 Depth=5
	v_pk_mov_b32 v[6:7], s[30:31], s[30:31] op_sel:[0,1]
	v_mad_u64_u32 v[6:7], s[18:19], v2, s82, v[6:7]
	v_mad_u64_u32 v[10:11], s[18:19], s63, 24, v[6:7]
	s_mov_b64 s[18:19], 0
	s_branch .LBB0_562
.LBB0_560:                              ;   in Loop: Header=BB0_551 Depth=5
	s_mov_b64 s[12:13], 0
	s_mov_b64 s[54:55], -1
	s_mov_b64 s[18:19], 0
                                        ; implicit-def: $sgpr63
                                        ; implicit-def: $sgpr64
	s_mov_b64 s[22:23], -1
	s_branch .LBB0_571
.LBB0_561:                              ;   in Loop: Header=BB0_551 Depth=5
                                        ; implicit-def: $vgpr10_vgpr11
.LBB0_562:                              ;   in Loop: Header=BB0_551 Depth=5
	s_andn2_b64 vcc, exec, s[18:19]
	s_cbranch_vccnz .LBB0_564
; %bb.563:                              ;   in Loop: Header=BB0_551 Depth=5
	s_add_i32 s18, s63, 0xffffff00
	v_pk_mov_b32 v[6:7], s[30:31], s[30:31] op_sel:[0,1]
	s_lshr_b32 s20, s18, 8
	v_mad_u64_u32 v[6:7], s[18:19], v2, s82, v[6:7]
	v_mad_u64_u32 v[6:7], s[18:19], s20, 24, v[6:7]
	global_load_dwordx2 v[6:7], v[6:7], off glc
	s_and_b32 s18, s63, 0xff
	s_waitcnt vmcnt(0)
	v_mad_u64_u32 v[10:11], s[18:19], s18, 24, v[6:7]
.LBB0_564:                              ;   in Loop: Header=BB0_551 Depth=5
	v_mov_b32_e32 v6, s63
	global_store_dword v8, v6, s[14:15] offset:4
	v_mov_b32_e32 v6, s14
	v_mov_b32_e32 v7, s15
	;; [unrolled: 1-line block ×3, first 2 shown]
	global_atomic_cmpswap_x2 v[6:7], v[10:11], v[6:9], off offset:8 glc
	s_waitcnt vmcnt(0)
	v_cmp_eq_u64_e32 vcc, 0, v[6:7]
	v_pk_mov_b32 v[6:7], 0, 0
	s_and_saveexec_b64 s[18:19], vcc
	s_cbranch_execz .LBB0_566
; %bb.565:                              ;   in Loop: Header=BB0_551 Depth=5
	global_atomic_add v[30:31], v62, off offset:2048
	v_pk_mov_b32 v[6:7], v[10:11], v[10:11] op_sel:[0,1]
.LBB0_566:                              ;   in Loop: Header=BB0_551 Depth=5
	s_or_b64 exec, exec, s[18:19]
.LBB0_567:                              ;   in Loop: Header=BB0_551 Depth=5
	s_or_b64 exec, exec, s[12:13]
	v_readfirstlane_b32 s12, v6
	v_readfirstlane_b32 s13, v7
	s_cmp_lg_u64 s[12:13], 0
	s_cbranch_scc1 .LBB0_569
; %bb.568:                              ;   in Loop: Header=BB0_551 Depth=5
	s_mov_b64 s[22:23], 0
	s_sleep 2
.LBB0_569:                              ;   in Loop: Header=BB0_551 Depth=5
	s_mov_b64 s[18:19], 0
.LBB0_570:                              ;   in Loop: Header=BB0_551 Depth=5
	s_mov_b64 s[54:55], 0
.LBB0_571:                              ;   in Loop: Header=BB0_551 Depth=5
	s_and_b64 vcc, exec, s[22:23]
	s_cbranch_vccz .LBB0_551
; %bb.572:                              ;   in Loop: Header=BB0_372 Depth=4
	s_and_b64 vcc, exec, s[54:55]
	s_cbranch_vccnz .LBB0_494
; %bb.573:                              ;   in Loop: Header=BB0_372 Depth=4
	s_xor_b64 s[22:23], s[18:19], -1
	s_mov_b64 s[18:19], -1
	s_and_b64 vcc, exec, s[22:23]
	s_cbranch_vccz .LBB0_575
; %bb.574:                              ;   in Loop: Header=BB0_372 Depth=4
	s_mov_b64 s[18:19], 0
.LBB0_575:                              ;   in Loop: Header=BB0_372 Depth=4
	s_andn2_b64 vcc, exec, s[18:19]
	s_cbranch_vccnz .LBB0_494
; %bb.576:                              ;   in Loop: Header=BB0_372 Depth=4
	s_and_saveexec_b64 s[18:19], s[10:11]
	s_cbranch_execz .LBB0_604
; %bb.577:                              ;   in Loop: Header=BB0_372 Depth=4
	s_load_dwordx2 s[54:55], s[8:9], 0x50
	v_readfirstlane_b32 s12, v32
	v_cmp_eq_u32_e64 s[12:13], s12, v32
	v_pk_mov_b32 v[6:7], 0, 0
	s_and_saveexec_b64 s[22:23], s[12:13]
	s_cbranch_execz .LBB0_583
; %bb.578:                              ;   in Loop: Header=BB0_372 Depth=4
	s_waitcnt lgkmcnt(0)
	global_load_dwordx2 v[24:25], v8, s[54:55] offset:24 glc
	s_waitcnt vmcnt(0)
	buffer_invl2
	buffer_wbinvl1_vol
	global_load_dwordx2 v[6:7], v8, s[54:55] offset:40
	global_load_dwordx2 v[10:11], v8, s[54:55]
	s_waitcnt vmcnt(1)
	v_and_b32_e32 v6, v6, v24
	v_and_b32_e32 v7, v7, v25
	v_mul_lo_u32 v7, v7, 24
	v_mul_hi_u32 v9, v6, 24
	v_mul_lo_u32 v6, v6, 24
	v_add_u32_e32 v7, v9, v7
	s_waitcnt vmcnt(0)
	v_add_co_u32_e32 v6, vcc, v10, v6
	v_addc_co_u32_e32 v7, vcc, v11, v7, vcc
	global_load_dwordx2 v[22:23], v[6:7], off glc
	s_waitcnt vmcnt(0)
	global_atomic_cmpswap_x2 v[6:7], v8, v[22:25], s[54:55] offset:24 glc
	s_waitcnt vmcnt(0)
	buffer_invl2
	buffer_wbinvl1_vol
	v_cmp_ne_u64_e32 vcc, v[6:7], v[24:25]
	s_and_saveexec_b64 s[56:57], vcc
	s_cbranch_execz .LBB0_582
; %bb.579:                              ;   in Loop: Header=BB0_372 Depth=4
	s_mov_b64 s[58:59], 0
.LBB0_580:                              ;   Parent Loop BB0_3 Depth=1
                                        ;     Parent Loop BB0_6 Depth=2
                                        ;       Parent Loop BB0_340 Depth=3
                                        ;         Parent Loop BB0_372 Depth=4
                                        ; =>        This Inner Loop Header: Depth=5
	s_sleep 1
	global_load_dwordx2 v[10:11], v8, s[54:55] offset:40
	global_load_dwordx2 v[14:15], v8, s[54:55]
	v_pk_mov_b32 v[24:25], v[6:7], v[6:7] op_sel:[0,1]
	s_waitcnt vmcnt(1)
	v_and_b32_e32 v6, v10, v24
	s_waitcnt vmcnt(0)
	v_mad_u64_u32 v[6:7], vcc, v6, 24, v[14:15]
	v_and_b32_e32 v9, v11, v25
	v_mov_b32_e32 v10, v7
	v_mad_u64_u32 v[10:11], vcc, v9, 24, v[10:11]
	v_mov_b32_e32 v7, v10
	global_load_dwordx2 v[22:23], v[6:7], off glc
	s_waitcnt vmcnt(0)
	global_atomic_cmpswap_x2 v[6:7], v8, v[22:25], s[54:55] offset:24 glc
	s_waitcnt vmcnt(0)
	buffer_invl2
	buffer_wbinvl1_vol
	v_cmp_eq_u64_e32 vcc, v[6:7], v[24:25]
	s_or_b64 s[58:59], vcc, s[58:59]
	s_andn2_b64 exec, exec, s[58:59]
	s_cbranch_execnz .LBB0_580
; %bb.581:                              ;   in Loop: Header=BB0_372 Depth=4
	s_or_b64 exec, exec, s[58:59]
.LBB0_582:                              ;   in Loop: Header=BB0_372 Depth=4
	s_or_b64 exec, exec, s[56:57]
.LBB0_583:                              ;   in Loop: Header=BB0_372 Depth=4
	s_or_b64 exec, exec, s[22:23]
	s_waitcnt lgkmcnt(0)
	global_load_dwordx2 v[10:11], v8, s[54:55] offset:40
	global_load_dwordx4 v[22:25], v8, s[54:55]
	v_readfirstlane_b32 s56, v6
	v_readfirstlane_b32 s57, v7
	s_mov_b64 s[22:23], exec
	s_waitcnt vmcnt(1)
	v_readfirstlane_b32 vcc_lo, v10
	v_readfirstlane_b32 vcc_hi, v11
	s_and_b64 s[58:59], s[56:57], vcc
	s_mul_i32 s20, s59, 24
	s_mul_hi_u32 vcc_lo, s58, 24
	s_mul_i32 vcc_hi, s58, 24
	s_add_i32 s20, vcc_lo, s20
	v_mov_b32_e32 v7, s20
	s_waitcnt vmcnt(0)
	v_add_co_u32_e32 v6, vcc, vcc_hi, v22
	v_addc_co_u32_e32 v7, vcc, v23, v7, vcc
	s_and_saveexec_b64 vcc, s[12:13]
	s_cbranch_execz .LBB0_585
; %bb.584:                              ;   in Loop: Header=BB0_372 Depth=4
	v_pk_mov_b32 v[10:11], s[22:23], s[22:23] op_sel:[0,1]
	global_store_dwordx4 v[6:7], v[10:13], off offset:8
.LBB0_585:                              ;   in Loop: Header=BB0_372 Depth=4
	s_or_b64 exec, exec, vcc
	s_lshl_b64 s[22:23], s[58:59], 12
	v_mov_b32_e32 v9, s23
	v_add_co_u32_e32 v10, vcc, s22, v24
	s_mov_b32 s22, s21
	s_mov_b32 s23, s21
	v_addc_co_u32_e32 v9, vcc, v25, v9, vcc
	s_mov_b32 s20, s21
	v_pk_mov_b32 v[52:53], s[22:23], s[22:23] op_sel:[0,1]
	v_lshlrev_b32_e32 v11, 6, v32
	v_pk_mov_b32 v[14:15], s[14:15], s[14:15] op_sel:[0,1]
	v_readfirstlane_b32 s14, v10
	v_readfirstlane_b32 s15, v9
	v_pk_mov_b32 v[50:51], s[20:21], s[20:21] op_sel:[0,1]
	v_mov_b32_e32 v9, v8
	s_nop 2
	global_store_dwordx2 v11, v[14:15], s[14:15]
	global_store_dwordx4 v11, v[50:53], s[14:15] offset:8
	global_store_dwordx4 v11, v[50:53], s[14:15] offset:24
	;; [unrolled: 1-line block ×3, first 2 shown]
	global_store_dwordx2 v11, v[8:9], s[14:15] offset:56
	s_and_saveexec_b64 s[14:15], s[12:13]
	s_cbranch_execz .LBB0_593
; %bb.586:                              ;   in Loop: Header=BB0_372 Depth=4
	global_load_dwordx2 v[52:53], v8, s[54:55] offset:32 glc
	global_load_dwordx2 v[10:11], v8, s[54:55] offset:40
	v_mov_b32_e32 v50, s56
	v_mov_b32_e32 v51, s57
	s_waitcnt vmcnt(0)
	v_and_b32_e32 v9, s56, v10
	v_and_b32_e32 v10, s57, v11
	v_mul_lo_u32 v10, v10, 24
	v_mul_hi_u32 v11, v9, 24
	v_mul_lo_u32 v9, v9, 24
	v_add_u32_e32 v11, v11, v10
	v_add_co_u32_e32 v10, vcc, v22, v9
	v_addc_co_u32_e32 v11, vcc, v23, v11, vcc
	global_store_dwordx2 v[10:11], v[52:53], off
	buffer_wbl2
	s_waitcnt vmcnt(0)
	global_atomic_cmpswap_x2 v[24:25], v8, v[50:53], s[54:55] offset:32 glc
	s_waitcnt vmcnt(0)
	v_cmp_ne_u64_e32 vcc, v[24:25], v[52:53]
	s_and_saveexec_b64 s[22:23], vcc
	s_cbranch_execz .LBB0_589
; %bb.587:                              ;   in Loop: Header=BB0_372 Depth=4
	s_mov_b64 s[58:59], 0
.LBB0_588:                              ;   Parent Loop BB0_3 Depth=1
                                        ;     Parent Loop BB0_6 Depth=2
                                        ;       Parent Loop BB0_340 Depth=3
                                        ;         Parent Loop BB0_372 Depth=4
                                        ; =>        This Inner Loop Header: Depth=5
	s_sleep 1
	global_store_dwordx2 v[10:11], v[24:25], off
	v_mov_b32_e32 v22, s56
	v_mov_b32_e32 v23, s57
	buffer_wbl2
	s_waitcnt vmcnt(0)
	global_atomic_cmpswap_x2 v[14:15], v8, v[22:25], s[54:55] offset:32 glc
	s_waitcnt vmcnt(0)
	v_cmp_eq_u64_e32 vcc, v[14:15], v[24:25]
	s_or_b64 s[58:59], vcc, s[58:59]
	v_pk_mov_b32 v[24:25], v[14:15], v[14:15] op_sel:[0,1]
	s_andn2_b64 exec, exec, s[58:59]
	s_cbranch_execnz .LBB0_588
.LBB0_589:                              ;   in Loop: Header=BB0_372 Depth=4
	s_or_b64 exec, exec, s[22:23]
	global_load_dwordx2 v[10:11], v8, s[54:55] offset:16
	s_mov_b64 s[58:59], exec
	v_mbcnt_lo_u32_b32 v9, s58, 0
	v_mbcnt_hi_u32_b32 v9, s59, v9
	v_cmp_eq_u32_e32 vcc, 0, v9
	s_and_saveexec_b64 s[22:23], vcc
	s_cbranch_execz .LBB0_591
; %bb.590:                              ;   in Loop: Header=BB0_372 Depth=4
	s_bcnt1_i32_b64 s20, s[58:59]
	v_mov_b32_e32 v14, s20
	v_mov_b32_e32 v15, v8
	buffer_wbl2
	s_waitcnt vmcnt(0)
	global_atomic_add_x2 v[10:11], v[14:15], off offset:8
.LBB0_591:                              ;   in Loop: Header=BB0_372 Depth=4
	s_or_b64 exec, exec, s[22:23]
	s_waitcnt vmcnt(0)
	global_load_dwordx2 v[14:15], v[10:11], off offset:16
	s_waitcnt vmcnt(0)
	v_cmp_eq_u64_e32 vcc, 0, v[14:15]
	s_cbranch_vccnz .LBB0_593
; %bb.592:                              ;   in Loop: Header=BB0_372 Depth=4
	global_load_dword v10, v[10:11], off offset:24
	v_mov_b32_e32 v11, v8
	s_waitcnt vmcnt(0)
	v_and_b32_e32 v9, 0xffffff, v10
	v_readfirstlane_b32 m0, v9
	buffer_wbl2
	global_store_dwordx2 v[14:15], v[10:11], off
	s_sendmsg sendmsg(MSG_INTERRUPT)
.LBB0_593:                              ;   in Loop: Header=BB0_372 Depth=4
	s_or_b64 exec, exec, s[14:15]
.LBB0_594:                              ;   Parent Loop BB0_3 Depth=1
                                        ;     Parent Loop BB0_6 Depth=2
                                        ;       Parent Loop BB0_340 Depth=3
                                        ;         Parent Loop BB0_372 Depth=4
                                        ; =>        This Inner Loop Header: Depth=5
	v_mov_b32_e32 v9, 1
	s_and_saveexec_b64 s[14:15], s[12:13]
	s_cbranch_execz .LBB0_596
; %bb.595:                              ;   in Loop: Header=BB0_594 Depth=5
	global_load_dword v9, v[6:7], off offset:20 glc
	s_waitcnt vmcnt(0)
	buffer_invl2
	buffer_wbinvl1_vol
	v_and_b32_e32 v9, 1, v9
.LBB0_596:                              ;   in Loop: Header=BB0_594 Depth=5
	s_or_b64 exec, exec, s[14:15]
	v_readfirstlane_b32 s14, v9
	s_cmp_eq_u32 s14, 0
	s_cbranch_scc1 .LBB0_598
; %bb.597:                              ;   in Loop: Header=BB0_594 Depth=5
	s_mov_b64 s[14:15], 0
	s_sleep 1
	s_branch .LBB0_599
.LBB0_598:                              ;   in Loop: Header=BB0_594 Depth=5
	s_mov_b64 s[14:15], -1
.LBB0_599:                              ;   in Loop: Header=BB0_594 Depth=5
	s_andn2_b64 vcc, exec, s[14:15]
	s_cbranch_vccnz .LBB0_594
; %bb.600:                              ;   in Loop: Header=BB0_372 Depth=4
	s_and_b64 exec, exec, s[12:13]
	s_cbranch_execz .LBB0_604
; %bb.601:                              ;   in Loop: Header=BB0_372 Depth=4
	global_load_dwordx2 v[6:7], v8, s[54:55] offset:40
	global_load_dwordx2 v[10:11], v8, s[54:55] offset:24 glc
	global_load_dwordx2 v[14:15], v8, s[54:55]
	v_mov_b32_e32 v9, s57
	s_waitcnt vmcnt(2)
	v_add_co_u32_e32 v17, vcc, 1, v6
	v_addc_co_u32_e32 v21, vcc, 0, v7, vcc
	v_add_co_u32_e32 v18, vcc, s56, v17
	v_addc_co_u32_e32 v19, vcc, v21, v9, vcc
	v_cmp_eq_u64_e32 vcc, 0, v[18:19]
	v_cndmask_b32_e32 v23, v19, v21, vcc
	v_cndmask_b32_e32 v22, v18, v17, vcc
	v_and_b32_e32 v7, v23, v7
	v_and_b32_e32 v6, v22, v6
	v_mul_lo_u32 v7, v7, 24
	v_mul_hi_u32 v9, v6, 24
	v_mul_lo_u32 v6, v6, 24
	v_add_u32_e32 v7, v9, v7
	s_waitcnt vmcnt(0)
	v_add_co_u32_e32 v6, vcc, v14, v6
	v_addc_co_u32_e32 v7, vcc, v15, v7, vcc
	v_mov_b32_e32 v24, v10
	global_store_dwordx2 v[6:7], v[10:11], off
	v_mov_b32_e32 v25, v11
	buffer_wbl2
	s_waitcnt vmcnt(0)
	global_atomic_cmpswap_x2 v[24:25], v8, v[22:25], s[54:55] offset:24 glc
	s_waitcnt vmcnt(0)
	v_cmp_ne_u64_e32 vcc, v[24:25], v[10:11]
	s_and_b64 exec, exec, vcc
	s_cbranch_execz .LBB0_604
; %bb.602:                              ;   in Loop: Header=BB0_372 Depth=4
	s_mov_b64 s[12:13], 0
.LBB0_603:                              ;   Parent Loop BB0_3 Depth=1
                                        ;     Parent Loop BB0_6 Depth=2
                                        ;       Parent Loop BB0_340 Depth=3
                                        ;         Parent Loop BB0_372 Depth=4
                                        ; =>        This Inner Loop Header: Depth=5
	s_sleep 1
	global_store_dwordx2 v[6:7], v[24:25], off
	buffer_wbl2
	s_waitcnt vmcnt(0)
	global_atomic_cmpswap_x2 v[10:11], v8, v[22:25], s[54:55] offset:24 glc
	s_waitcnt vmcnt(0)
	v_cmp_eq_u64_e32 vcc, v[10:11], v[24:25]
	s_or_b64 s[12:13], vcc, s[12:13]
	v_pk_mov_b32 v[24:25], v[10:11], v[10:11] op_sel:[0,1]
	s_andn2_b64 exec, exec, s[12:13]
	s_cbranch_execnz .LBB0_603
.LBB0_604:                              ;   in Loop: Header=BB0_372 Depth=4
	s_or_b64 exec, exec, s[18:19]
	s_mov_b64 s[18:19], -1
	s_mov_b64 s[12:13], s[16:17]
	s_branch .LBB0_494
.LBB0_605:                              ;   in Loop: Header=BB0_340 Depth=3
	s_cmp_lg_u64 s[16:17], 1
	s_cselect_b64 s[10:11], -1, 0
	s_and_b64 vcc, exec, s[10:11]
	s_cbranch_vccz .LBB0_607
; %bb.606:                              ;   in Loop: Header=BB0_340 Depth=3
	v_pk_mov_b32 v[0:1], s[16:17], s[16:17] op_sel:[0,1]
	v_pk_mov_b32 v[6:7], s[16:17], s[16:17] op_sel:[0,1]
	s_branch .LBB0_627
.LBB0_607:                              ;   in Loop: Header=BB0_340 Depth=3
	v_mbcnt_lo_u32_b32 v6, exec_lo, 0
	v_mbcnt_hi_u32_b32 v6, exec_hi, v6
	v_cmp_eq_u32_e32 vcc, 0, v6
	s_and_saveexec_b64 s[12:13], vcc
	s_cbranch_execz .LBB0_624
; %bb.608:                              ;   in Loop: Header=BB0_340 Depth=3
	global_load_dwordx2 v[6:7], v[38:39], off glc
	s_memrealtime s[14:15]
	s_waitcnt lgkmcnt(0)
	v_mov_b32_e32 v9, s15
	s_waitcnt vmcnt(0)
	v_sub_co_u32_e32 v6, vcc, s14, v6
	v_subb_co_u32_e32 v7, vcc, v9, v7, vcc
	v_cmp_gt_u64_e32 vcc, s[46:47], v[6:7]
	s_and_b64 exec, exec, vcc
	s_cbranch_execz .LBB0_624
; %bb.609:                              ;   in Loop: Header=BB0_340 Depth=3
	s_memrealtime s[16:17]
	v_sub_u32_e32 v6, 0x4e20, v6
	v_readfirstlane_b32 s14, v6
	s_ashr_i32 s15, s14, 31
	s_waitcnt lgkmcnt(0)
	s_add_u32 s14, s16, s14
	s_addc_u32 s15, s17, s15
.LBB0_610:                              ;   Parent Loop BB0_3 Depth=1
                                        ;     Parent Loop BB0_6 Depth=2
                                        ;       Parent Loop BB0_340 Depth=3
                                        ; =>      This Inner Loop Header: Depth=4
	s_waitcnt lgkmcnt(0)
	s_add_u32 s18, s16, 0x659
	s_addc_u32 s19, s17, 0
	v_pk_mov_b32 v[6:7], s[18:19], s[18:19] op_sel:[0,1]
	v_cmp_le_u64_e32 vcc, s[14:15], v[6:7]
	s_cbranch_vccnz .LBB0_613
; %bb.611:                              ;   in Loop: Header=BB0_610 Depth=4
	s_sleep 0x7f
	s_memrealtime s[16:17]
	s_branch .LBB0_610
.LBB0_612:                              ;   in Loop: Header=BB0_613 Depth=4
	s_sleep 63
	s_memrealtime s[16:17]
.LBB0_613:                              ;   Parent Loop BB0_3 Depth=1
                                        ;     Parent Loop BB0_6 Depth=2
                                        ;       Parent Loop BB0_340 Depth=3
                                        ; =>      This Inner Loop Header: Depth=4
	s_waitcnt lgkmcnt(0)
	s_add_u32 s18, s16, 0x326
	s_addc_u32 s19, s17, 0
	v_pk_mov_b32 v[6:7], s[18:19], s[18:19] op_sel:[0,1]
	v_cmp_le_u64_e32 vcc, s[14:15], v[6:7]
	s_cbranch_vccz .LBB0_612
; %bb.614:                              ;   in Loop: Header=BB0_340 Depth=3
	s_add_u32 s18, s16, 0x18c
	s_addc_u32 s19, s17, 0
	v_pk_mov_b32 v[6:7], s[18:19], s[18:19] op_sel:[0,1]
	v_cmp_le_u64_e32 vcc, s[14:15], v[6:7]
	s_cbranch_vccnz .LBB0_617
.LBB0_615:                              ;   Parent Loop BB0_3 Depth=1
                                        ;     Parent Loop BB0_6 Depth=2
                                        ;       Parent Loop BB0_340 Depth=3
                                        ; =>      This Inner Loop Header: Depth=4
	s_sleep 31
	s_memrealtime s[16:17]
	s_waitcnt lgkmcnt(0)
	s_add_u32 s18, s16, 0x18c
	s_addc_u32 s19, s17, 0
	v_pk_mov_b32 v[6:7], s[18:19], s[18:19] op_sel:[0,1]
	v_cmp_gt_u64_e32 vcc, s[14:15], v[6:7]
	s_cbranch_vccnz .LBB0_615
	s_branch .LBB0_617
.LBB0_616:                              ;   in Loop: Header=BB0_617 Depth=4
	s_sleep 15
	s_memrealtime s[16:17]
.LBB0_617:                              ;   Parent Loop BB0_3 Depth=1
                                        ;     Parent Loop BB0_6 Depth=2
                                        ;       Parent Loop BB0_340 Depth=3
                                        ; =>      This Inner Loop Header: Depth=4
	s_waitcnt lgkmcnt(0)
	s_add_u32 s18, s16, 0xc0
	s_addc_u32 s19, s17, 0
	v_pk_mov_b32 v[6:7], s[18:19], s[18:19] op_sel:[0,1]
	v_cmp_le_u64_e32 vcc, s[14:15], v[6:7]
	s_cbranch_vccz .LBB0_616
	s_branch .LBB0_619
.LBB0_618:                              ;   in Loop: Header=BB0_619 Depth=4
	s_sleep 7
	s_memrealtime s[16:17]
.LBB0_619:                              ;   Parent Loop BB0_3 Depth=1
                                        ;     Parent Loop BB0_6 Depth=2
                                        ;       Parent Loop BB0_340 Depth=3
                                        ; =>      This Inner Loop Header: Depth=4
	s_waitcnt lgkmcnt(0)
	s_add_u32 s18, s16, 0x59
	s_addc_u32 s19, s17, 0
	v_pk_mov_b32 v[6:7], s[18:19], s[18:19] op_sel:[0,1]
	v_cmp_le_u64_e32 vcc, s[14:15], v[6:7]
	s_cbranch_vccz .LBB0_618
	;; [unrolled: 14-line block ×3, first 2 shown]
; %bb.622:                              ;   in Loop: Header=BB0_340 Depth=3
	v_pk_mov_b32 v[6:7], s[16:17], s[16:17] op_sel:[0,1]
	v_cmp_le_u64_e32 vcc, s[14:15], v[6:7]
	s_cbranch_vccnz .LBB0_624
.LBB0_623:                              ;   Parent Loop BB0_3 Depth=1
                                        ;     Parent Loop BB0_6 Depth=2
                                        ;       Parent Loop BB0_340 Depth=3
                                        ; =>      This Inner Loop Header: Depth=4
	s_sleep 1
	s_memrealtime s[16:17]
	s_waitcnt lgkmcnt(0)
	v_pk_mov_b32 v[6:7], s[16:17], s[16:17] op_sel:[0,1]
	v_cmp_gt_u64_e32 vcc, s[14:15], v[6:7]
	s_cbranch_vccnz .LBB0_623
.LBB0_624:                              ;   in Loop: Header=BB0_340 Depth=3
	s_or_b64 exec, exec, s[12:13]
	v_mov_b32_e32 v6, s87
	s_and_saveexec_b64 s[12:13], s[6:7]
	s_cbranch_execz .LBB0_626
; %bb.625:                              ;   in Loop: Header=BB0_340 Depth=3
	global_load_dword v6, v[30:31], off offset:2048 glc
.LBB0_626:                              ;   in Loop: Header=BB0_340 Depth=3
	s_or_b64 exec, exec, s[12:13]
	s_waitcnt vmcnt(0)
	v_readfirstlane_b32 s87, v6
.LBB0_627:                              ;   in Loop: Header=BB0_340 Depth=3
	v_pk_mov_b32 v[6:7], v[0:1], v[0:1] op_sel:[0,1]
.LBB0_628:                              ;   in Loop: Header=BB0_340 Depth=3
	s_and_b64 vcc, exec, s[10:11]
	s_cbranch_vccz .LBB0_340
.LBB0_629:                              ;   in Loop: Header=BB0_6 Depth=2
	v_readfirstlane_b32 s12, v6
	v_readfirstlane_b32 s13, v7
	s_cmp_eq_u64 s[12:13], 0
	v_mov_b32_e32 v9, 0
	v_mov_b32_e32 v1, 0
	s_cbranch_scc1 .LBB0_650
; %bb.630:                              ;   in Loop: Header=BB0_6 Depth=2
	s_nop 0
	global_load_dwordx2 v[0:1], v8, s[12:13] offset:8 glc
	s_mov_b64 s[6:7], exec
	v_mbcnt_lo_u32_b32 v9, exec_lo, 0
	v_mbcnt_hi_u32_b32 v9, s7, v9
	v_mov_b32_e32 v6, 0
	v_cmp_eq_u32_e32 vcc, 0, v9
	s_waitcnt vmcnt(0)
	global_load_dword v7, v[0:1], off
	s_waitcnt vmcnt(0)
	v_readfirstlane_b32 s20, v7
	s_and_saveexec_b64 s[10:11], vcc
	s_cbranch_execz .LBB0_634
; %bb.631:                              ;   in Loop: Header=BB0_6 Depth=2
	s_mov_b64 s[16:17], exec
	v_mbcnt_lo_u32_b32 v6, s16, 0
	v_mbcnt_hi_u32_b32 v6, s17, v6
	s_bcnt1_i32_b64 s18, s[6:7]
	v_cmp_eq_u32_e64 s[6:7], 0, v6
                                        ; implicit-def: $vgpr7
	s_and_saveexec_b64 s[14:15], s[6:7]
	s_cbranch_execz .LBB0_633
; %bb.632:                              ;   in Loop: Header=BB0_6 Depth=2
	s_bcnt1_i32_b64 s6, s[16:17]
	s_mul_i32 s6, s18, s6
	v_mov_b32_e32 v7, s6
	global_atomic_add v7, v[0:1], v7, off offset:8 glc
.LBB0_633:                              ;   in Loop: Header=BB0_6 Depth=2
	s_or_b64 exec, exec, s[14:15]
	s_waitcnt vmcnt(0)
	v_readfirstlane_b32 s6, v7
	v_mov_b32_e32 v7, s6
	v_mad_u32_u24 v6, s18, v6, v7
.LBB0_634:                              ;   in Loop: Header=BB0_6 Depth=2
	s_or_b64 exec, exec, s[10:11]
	s_lshl_b64 s[10:11], s[20:21], 5
	s_getpc_b64 s[6:7]
	s_add_u32 s6, s6, __unnamed_1@rel32@lo+4
	s_addc_u32 s7, s7, __unnamed_1@rel32@hi+12
	s_add_u32 s6, s10, s6
	s_addc_u32 s7, s11, s7
	s_load_dword s14, s[6:7], 0x0
	v_readfirstlane_b32 s6, v6
	v_pk_mov_b32 v[6:7], 0, 0
	s_waitcnt lgkmcnt(0)
	s_add_i32 s7, s14, 31
	s_cmp_lt_u32 s7, 32
	s_cbranch_scc1 .LBB0_644
; %bb.635:                              ;   in Loop: Header=BB0_6 Depth=2
	v_cvt_f32_u32_e32 v6, s14
	s_lshr_b32 s54, s7, 5
	s_getpc_b64 s[16:17]
	s_add_u32 s16, s16, __unnamed_1@rel32@lo+32
	s_addc_u32 s17, s17, __unnamed_1@rel32@hi+40
	s_add_u32 s16, s10, s16
	v_rcp_iflag_f32_e32 v6, v6
	s_addc_u32 s17, s11, s17
	s_load_dword s7, s[16:17], 0x0
	v_add_u32_e32 v7, s6, v9
	v_mul_f32_e32 v6, 0x4f7ffffe, v6
	v_cvt_u32_f32_e32 v6, v6
	s_sub_i32 s6, 0, s14
	s_waitcnt lgkmcnt(0)
	v_mul_lo_u32 v7, s7, v7
	s_mov_b64 s[16:17], 0
	v_mul_lo_u32 v9, s6, v6
	v_mul_hi_u32 v9, v6, v9
	v_add_u32_e32 v6, v6, v9
	v_mul_hi_u32 v6, v7, v6
	v_mul_lo_u32 v6, v6, s14
	v_sub_u32_e32 v6, v7, v6
	v_subrev_u32_e32 v7, s14, v6
	v_cmp_le_u32_e64 s[6:7], s14, v6
	v_cndmask_b32_e64 v6, v6, v7, s[6:7]
	v_subrev_u32_e32 v7, s14, v6
	v_cmp_le_u32_e64 s[6:7], s14, v6
	v_cndmask_b32_e64 v6, v6, v7, s[6:7]
	v_lshrrev_b32_e32 v10, 5, v6
	v_cvt_f32_u32_e32 v6, s54
	s_getpc_b64 s[6:7]
	s_add_u32 s6, s6, __unnamed_1@rel32@lo+16
	s_addc_u32 s7, s7, __unnamed_1@rel32@hi+24
	s_add_u32 s14, s10, s6
	s_addc_u32 s15, s11, s7
	v_rcp_iflag_f32_e32 v6, v6
	s_lshr_b32 s6, s20, 1
	s_add_i32 s6, s6, 4
	s_lshl_b32 s6, 1, s6
	s_bfe_i32 s7, s20, 0x10000
	s_lshr_b32 s10, s6, 1
	v_mul_f32_e32 v6, 0x4f7ffffe, v6
	s_and_b32 s20, s7, s10
	v_cvt_u32_f32_e32 v6, v6
	s_add_i32 s20, s20, s6
	v_add_co_u32_e64 v9, s[6:7], 16, v0
	v_addc_co_u32_e64 v17, s[6:7], 0, v1, s[6:7]
	s_sub_i32 s6, 0, s54
	v_mul_lo_u32 v7, s6, v6
	v_mul_hi_u32 v7, v6, v7
	v_add_u32_e32 v18, v6, v7
	s_add_i32 s55, s54, -1
	v_pk_mov_b32 v[6:7], 0, 0
.LBB0_636:                              ;   Parent Loop BB0_3 Depth=1
                                        ;     Parent Loop BB0_6 Depth=2
                                        ; =>    This Inner Loop Header: Depth=3
	v_mov_b32_e32 v11, v8
	v_lshlrev_b64 v[14:15], 2, v[10:11]
	v_add_co_u32_e64 v14, s[6:7], v9, v14
	v_addc_co_u32_e64 v15, s[6:7], v17, v15, s[6:7]
	global_load_dword v19, v[14:15], off glc
	s_mov_b64 s[10:11], -1
                                        ; implicit-def: $vgpr11
	s_waitcnt vmcnt(0)
	v_cmp_ne_u32_e64 s[6:7], -1, v19
	s_and_saveexec_b64 s[18:19], s[6:7]
	s_cbranch_execz .LBB0_640
; %bb.637:                              ;   in Loop: Header=BB0_636 Depth=3
	v_not_b32_e32 v11, v19
	v_ffbl_b32_e32 v11, v11
	v_min_u32_e32 v19, 32, v11
	v_lshlrev_b32_e64 v11, v19, 1
	global_atomic_or v14, v[14:15], v11, off glc
	s_waitcnt vmcnt(0)
	v_and_b32_e32 v11, v14, v11
	v_cmp_ne_u32_e64 s[6:7], 0, v11
	v_cmp_eq_u32_e64 s[10:11], 0, v11
	v_mov_b32_e32 v11, 0
	s_and_saveexec_b64 s[22:23], s[10:11]
	s_cbranch_execz .LBB0_639
; %bb.638:                              ;   in Loop: Header=BB0_636 Depth=3
	s_load_dword s10, s[14:15], 0x0
	v_lshl_add_u32 v6, v10, 5, v19
	v_mul_lo_u32 v6, v6, s20
	s_waitcnt lgkmcnt(0)
	v_add_co_u32_e64 v7, s[10:11], s10, v0
	v_addc_co_u32_e64 v11, s[10:11], 0, v1, s[10:11]
	v_add_co_u32_e64 v6, s[10:11], v7, v6
	v_addc_co_u32_e64 v7, s[10:11], 0, v11, s[10:11]
	v_mov_b32_e32 v11, 2
.LBB0_639:                              ;   in Loop: Header=BB0_636 Depth=3
	s_or_b64 exec, exec, s[22:23]
	s_orn2_b64 s[10:11], s[6:7], exec
.LBB0_640:                              ;   in Loop: Header=BB0_636 Depth=3
	s_or_b64 exec, exec, s[18:19]
	s_and_saveexec_b64 s[18:19], s[10:11]
; %bb.641:                              ;   in Loop: Header=BB0_636 Depth=3
	v_add_u32_e32 v10, 1, v10
	v_mul_hi_u32 v11, v10, v18
	v_mul_lo_u32 v11, v11, s54
	v_sub_u32_e32 v10, v10, v11
	v_subrev_u32_e32 v11, s54, v10
	v_cmp_le_u32_e64 s[6:7], s54, v10
	v_cndmask_b32_e64 v10, v10, v11, s[6:7]
	v_subrev_u32_e32 v11, s54, v10
	v_cmp_le_u32_e64 s[6:7], s54, v10
	v_cndmask_b32_e64 v10, v10, v11, s[6:7]
	v_mov_b32_e32 v11, 0
; %bb.642:                              ;   in Loop: Header=BB0_636 Depth=3
	s_or_b64 exec, exec, s[18:19]
	s_cmp_eq_u32 s55, 0
	v_cmp_ne_u32_e64 s[6:7], 0, v11
	s_cselect_b64 s[10:11], -1, 0
	s_or_b64 s[6:7], s[6:7], s[10:11]
	s_add_i32 s55, s55, -1
	s_and_b64 s[6:7], exec, s[6:7]
	s_or_b64 s[16:17], s[6:7], s[16:17]
	s_andn2_b64 exec, exec, s[16:17]
	s_cbranch_execnz .LBB0_636
; %bb.643:                              ;   in Loop: Header=BB0_6 Depth=2
	s_or_b64 exec, exec, s[16:17]
.LBB0_644:                              ;   in Loop: Header=BB0_6 Depth=2
	v_cmp_ne_u64_e64 s[6:7], 0, v[6:7]
	s_and_saveexec_b64 s[10:11], vcc
	s_cbranch_execz .LBB0_647
; %bb.645:                              ;   in Loop: Header=BB0_6 Depth=2
	s_mov_b64 s[14:15], exec
	v_mbcnt_lo_u32_b32 v0, s14, 0
	v_mbcnt_hi_u32_b32 v0, s15, v0
	v_cmp_eq_u32_e32 vcc, 0, v0
	s_and_b64 s[16:17], exec, vcc
	s_mov_b64 exec, s[16:17]
	s_cbranch_execz .LBB0_647
; %bb.646:                              ;   in Loop: Header=BB0_6 Depth=2
	s_bcnt1_i32_b64 s6, s[6:7]
	s_bcnt1_i32_b64 s7, s[14:15]
	s_mul_i32 s6, s6, s7
	v_mov_b32_e32 v0, s6
	global_atomic_add v8, v0, s[12:13] offset:16
.LBB0_647:                              ;   in Loop: Header=BB0_6 Depth=2
	s_or_b64 exec, exec, s[10:11]
	v_pk_mov_b32 v[0:1], 0, 0
	v_accvgpr_write_b32 a17, v1
	v_cmp_ne_u64_e32 vcc, 0, v[6:7]
	v_accvgpr_write_b32 a16, v0
	v_mov_b32_e32 v9, 1
	s_and_saveexec_b64 s[6:7], vcc
; %bb.648:                              ;   in Loop: Header=BB0_6 Depth=2
	v_accvgpr_write_b32 a17, v7
	v_mov_b32_e32 v9, 0
	v_accvgpr_write_b32 a16, v6
	v_mov_b32_e32 v27, 0
; %bb.649:                              ;   in Loop: Header=BB0_6 Depth=2
	s_or_b64 exec, exec, s[6:7]
	v_mov_b32_e32 v1, v27
.LBB0_650:                              ;   in Loop: Header=BB0_6 Depth=2
	v_mov_b32_e32 v27, v1
	v_accvgpr_read_b32 v0, a16
	v_accvgpr_read_b32 v1, a17
.LBB0_651:                              ;   in Loop: Header=BB0_6 Depth=2
	s_or_b64 exec, exec, s[52:53]
	v_mov_b32_e32 v6, v9
	;;#ASMSTART
	;;#ASMEND
	v_cmp_ne_u32_e32 vcc, 0, v6
	s_cbranch_vccnz .LBB0_6
.LBB0_652:                              ;   in Loop: Header=BB0_3 Depth=1
	s_or_b64 exec, exec, s[50:51]
.LBB0_653:                              ;   in Loop: Header=BB0_3 Depth=1
	s_or_b64 exec, exec, s[48:49]
	v_mov_b32_e32 v6, v27
	;;#ASMSTART
	;;#ASMEND
	v_cmp_ne_u32_e32 vcc, 0, v6
	s_cbranch_vccnz .LBB0_3
; %bb.654:
                                        ; implicit-def: $vgpr2_vgpr3
                                        ; implicit-def: $vgpr9
.LBB0_655:
	s_andn2_saveexec_b64 s[6:7], s[26:27]
	s_cbranch_execz .LBB0_687
; %bb.656:
	s_load_dwordx2 s[10:11], s[8:9], 0x50
	v_mbcnt_hi_u32_b32 v1, -1, v9
	v_readfirstlane_b32 s4, v1
	v_cmp_eq_u32_e64 s[4:5], s4, v1
	v_pk_mov_b32 v[8:9], 0, 0
	s_and_saveexec_b64 s[12:13], s[4:5]
	s_cbranch_execz .LBB0_662
; %bb.657:
	v_mov_b32_e32 v0, 0
	s_waitcnt lgkmcnt(0)
	global_load_dwordx2 v[6:7], v0, s[10:11] offset:24 glc
	s_waitcnt vmcnt(0)
	buffer_invl2
	buffer_wbinvl1_vol
	global_load_dwordx2 v[4:5], v0, s[10:11] offset:40
	global_load_dwordx2 v[8:9], v0, s[10:11]
	s_waitcnt vmcnt(1)
	v_and_b32_e32 v4, v4, v6
	v_and_b32_e32 v5, v5, v7
	v_mul_lo_u32 v5, v5, 24
	v_mul_hi_u32 v10, v4, 24
	v_mul_lo_u32 v4, v4, 24
	v_add_u32_e32 v5, v10, v5
	s_waitcnt vmcnt(0)
	v_add_co_u32_e32 v4, vcc, v8, v4
	v_addc_co_u32_e32 v5, vcc, v9, v5, vcc
	global_load_dwordx2 v[4:5], v[4:5], off glc
	s_waitcnt vmcnt(0)
	global_atomic_cmpswap_x2 v[8:9], v0, v[4:7], s[10:11] offset:24 glc
	s_waitcnt vmcnt(0)
	buffer_invl2
	buffer_wbinvl1_vol
	v_cmp_ne_u64_e32 vcc, v[8:9], v[6:7]
	s_and_saveexec_b64 s[14:15], vcc
	s_cbranch_execz .LBB0_661
; %bb.658:
	s_mov_b64 s[16:17], 0
.LBB0_659:                              ; =>This Inner Loop Header: Depth=1
	s_sleep 1
	global_load_dwordx2 v[4:5], v0, s[10:11] offset:40
	global_load_dwordx2 v[10:11], v0, s[10:11]
	v_pk_mov_b32 v[6:7], v[8:9], v[8:9] op_sel:[0,1]
	s_waitcnt vmcnt(1)
	v_and_b32_e32 v4, v4, v6
	v_and_b32_e32 v9, v5, v7
	s_waitcnt vmcnt(0)
	v_mad_u64_u32 v[4:5], s[18:19], v4, 24, v[10:11]
	v_mov_b32_e32 v8, v5
	v_mad_u64_u32 v[8:9], s[18:19], v9, 24, v[8:9]
	v_mov_b32_e32 v5, v8
	global_load_dwordx2 v[4:5], v[4:5], off glc
	s_waitcnt vmcnt(0)
	global_atomic_cmpswap_x2 v[8:9], v0, v[4:7], s[10:11] offset:24 glc
	s_waitcnt vmcnt(0)
	buffer_invl2
	buffer_wbinvl1_vol
	v_cmp_eq_u64_e32 vcc, v[8:9], v[6:7]
	s_or_b64 s[16:17], vcc, s[16:17]
	s_andn2_b64 exec, exec, s[16:17]
	s_cbranch_execnz .LBB0_659
; %bb.660:
	s_or_b64 exec, exec, s[16:17]
.LBB0_661:
	s_or_b64 exec, exec, s[14:15]
.LBB0_662:
	s_or_b64 exec, exec, s[12:13]
	v_mov_b32_e32 v0, 0
	s_waitcnt lgkmcnt(0)
	global_load_dwordx2 v[10:11], v0, s[10:11] offset:40
	global_load_dwordx4 v[4:7], v0, s[10:11]
	v_readfirstlane_b32 s12, v8
	v_readfirstlane_b32 s13, v9
	s_mov_b64 s[14:15], exec
	s_waitcnt vmcnt(1)
	v_readfirstlane_b32 s16, v10
	v_readfirstlane_b32 s17, v11
	s_and_b64 s[16:17], s[12:13], s[16:17]
	s_mul_i32 s18, s17, 24
	s_mul_hi_u32 s19, s16, 24
	s_mul_i32 s20, s16, 24
	s_add_i32 s18, s19, s18
	v_mov_b32_e32 v9, s18
	s_waitcnt vmcnt(0)
	v_add_co_u32_e32 v8, vcc, s20, v4
	v_addc_co_u32_e32 v9, vcc, v5, v9, vcc
	s_and_saveexec_b64 s[18:19], s[4:5]
	s_cbranch_execz .LBB0_664
; %bb.663:
	v_pk_mov_b32 v[10:11], s[14:15], s[14:15] op_sel:[0,1]
	v_mov_b32_e32 v12, 3
	v_mov_b32_e32 v13, 1
	global_store_dwordx4 v[8:9], v[10:13], off offset:8
.LBB0_664:
	s_or_b64 exec, exec, s[18:19]
	s_lshl_b64 s[14:15], s[16:17], 12
	v_mov_b32_e32 v11, s15
	v_add_co_u32_e32 v10, vcc, s14, v6
	v_addc_co_u32_e32 v11, vcc, v7, v11, vcc
	s_mov_b32 s16, 0
	v_lshlrev_b32_e32 v12, 6, v1
	v_mov_b32_e32 v1, v0
	v_readfirstlane_b32 s14, v10
	v_readfirstlane_b32 s15, v11
	s_mov_b32 s17, s16
	v_add_co_u32_e32 v6, vcc, v10, v12
	s_mov_b32 s18, s16
	s_mov_b32 s19, s16
	s_nop 0
	global_store_dwordx4 v12, v[0:3], s[14:15]
	v_addc_co_u32_e32 v7, vcc, 0, v11, vcc
	v_pk_mov_b32 v[0:1], s[16:17], s[16:17] op_sel:[0,1]
	v_pk_mov_b32 v[2:3], s[18:19], s[18:19] op_sel:[0,1]
	global_store_dwordx4 v12, v[0:3], s[14:15] offset:16
	global_store_dwordx4 v12, v[0:3], s[14:15] offset:32
	;; [unrolled: 1-line block ×3, first 2 shown]
	s_and_saveexec_b64 s[14:15], s[4:5]
	s_cbranch_execz .LBB0_672
; %bb.665:
	v_mov_b32_e32 v10, 0
	global_load_dwordx2 v[14:15], v10, s[10:11] offset:32 glc
	global_load_dwordx2 v[0:1], v10, s[10:11] offset:40
	v_mov_b32_e32 v12, s12
	v_mov_b32_e32 v13, s13
	s_waitcnt vmcnt(0)
	v_and_b32_e32 v0, s12, v0
	v_and_b32_e32 v1, s13, v1
	v_mul_lo_u32 v1, v1, 24
	v_mul_hi_u32 v2, v0, 24
	v_mul_lo_u32 v0, v0, 24
	v_add_u32_e32 v1, v2, v1
	v_add_co_u32_e32 v4, vcc, v4, v0
	v_addc_co_u32_e32 v5, vcc, v5, v1, vcc
	global_store_dwordx2 v[4:5], v[14:15], off
	buffer_wbl2
	s_waitcnt vmcnt(0)
	global_atomic_cmpswap_x2 v[2:3], v10, v[12:15], s[10:11] offset:32 glc
	s_waitcnt vmcnt(0)
	v_cmp_ne_u64_e32 vcc, v[2:3], v[14:15]
	s_and_saveexec_b64 s[16:17], vcc
	s_cbranch_execz .LBB0_668
; %bb.666:
	s_mov_b64 s[18:19], 0
.LBB0_667:                              ; =>This Inner Loop Header: Depth=1
	s_sleep 1
	global_store_dwordx2 v[4:5], v[2:3], off
	v_mov_b32_e32 v0, s12
	v_mov_b32_e32 v1, s13
	buffer_wbl2
	s_waitcnt vmcnt(0)
	global_atomic_cmpswap_x2 v[0:1], v10, v[0:3], s[10:11] offset:32 glc
	s_waitcnt vmcnt(0)
	v_cmp_eq_u64_e32 vcc, v[0:1], v[2:3]
	s_or_b64 s[18:19], vcc, s[18:19]
	v_pk_mov_b32 v[2:3], v[0:1], v[0:1] op_sel:[0,1]
	s_andn2_b64 exec, exec, s[18:19]
	s_cbranch_execnz .LBB0_667
.LBB0_668:
	s_or_b64 exec, exec, s[16:17]
	v_mov_b32_e32 v3, 0
	global_load_dwordx2 v[0:1], v3, s[10:11] offset:16
	s_mov_b64 s[16:17], exec
	v_mbcnt_lo_u32_b32 v2, s16, 0
	v_mbcnt_hi_u32_b32 v2, s17, v2
	v_cmp_eq_u32_e32 vcc, 0, v2
	s_and_saveexec_b64 s[18:19], vcc
	s_cbranch_execz .LBB0_670
; %bb.669:
	s_bcnt1_i32_b64 s16, s[16:17]
	v_mov_b32_e32 v2, s16
	buffer_wbl2
	s_waitcnt vmcnt(0)
	global_atomic_add_x2 v[0:1], v[2:3], off offset:8
.LBB0_670:
	s_or_b64 exec, exec, s[18:19]
	s_waitcnt vmcnt(0)
	global_load_dwordx2 v[2:3], v[0:1], off offset:16
	s_waitcnt vmcnt(0)
	v_cmp_eq_u64_e32 vcc, 0, v[2:3]
	s_cbranch_vccnz .LBB0_672
; %bb.671:
	global_load_dword v0, v[0:1], off offset:24
	v_mov_b32_e32 v1, 0
	buffer_wbl2
	s_waitcnt vmcnt(0)
	global_store_dwordx2 v[2:3], v[0:1], off
	v_and_b32_e32 v0, 0xffffff, v0
	v_readfirstlane_b32 m0, v0
	s_sendmsg sendmsg(MSG_INTERRUPT)
.LBB0_672:
	s_or_b64 exec, exec, s[14:15]
.LBB0_673:                              ; =>This Inner Loop Header: Depth=1
	v_mov_b32_e32 v0, 1
	s_and_saveexec_b64 s[14:15], s[4:5]
	s_cbranch_execz .LBB0_675
; %bb.674:                              ;   in Loop: Header=BB0_673 Depth=1
	global_load_dword v0, v[8:9], off offset:20 glc
	s_waitcnt vmcnt(0)
	buffer_invl2
	buffer_wbinvl1_vol
	v_and_b32_e32 v0, 1, v0
.LBB0_675:                              ;   in Loop: Header=BB0_673 Depth=1
	s_or_b64 exec, exec, s[14:15]
	v_readfirstlane_b32 s14, v0
	s_cmp_eq_u32 s14, 0
	s_cbranch_scc1 .LBB0_677
; %bb.676:                              ;   in Loop: Header=BB0_673 Depth=1
	s_mov_b64 s[14:15], 0
	s_sleep 1
	s_branch .LBB0_678
.LBB0_677:                              ;   in Loop: Header=BB0_673 Depth=1
	s_mov_b64 s[14:15], -1
.LBB0_678:                              ;   in Loop: Header=BB0_673 Depth=1
	s_andn2_b64 vcc, exec, s[14:15]
	s_cbranch_vccnz .LBB0_673
; %bb.679:
	global_load_dwordx2 v[12:13], v[6:7], off
	s_and_saveexec_b64 s[14:15], s[4:5]
	s_cbranch_execz .LBB0_682
; %bb.680:
	v_mov_b32_e32 v6, 0
	global_load_dwordx2 v[0:1], v6, s[10:11] offset:40
	global_load_dwordx2 v[8:9], v6, s[10:11] offset:24 glc
	global_load_dwordx2 v[10:11], v6, s[10:11]
	v_mov_b32_e32 v3, s13
	s_mov_b64 s[4:5], 0
	s_waitcnt vmcnt(2)
	v_add_co_u32_e32 v5, vcc, 1, v0
	v_addc_co_u32_e32 v7, vcc, 0, v1, vcc
	v_add_co_u32_e32 v2, vcc, s12, v5
	v_addc_co_u32_e32 v3, vcc, v7, v3, vcc
	v_cmp_eq_u64_e32 vcc, 0, v[2:3]
	v_cndmask_b32_e32 v3, v3, v7, vcc
	v_cndmask_b32_e32 v2, v2, v5, vcc
	v_and_b32_e32 v1, v3, v1
	v_and_b32_e32 v0, v2, v0
	v_mul_lo_u32 v1, v1, 24
	v_mul_hi_u32 v5, v0, 24
	v_mul_lo_u32 v0, v0, 24
	v_add_u32_e32 v1, v5, v1
	s_waitcnt vmcnt(0)
	v_add_co_u32_e32 v0, vcc, v10, v0
	v_addc_co_u32_e32 v1, vcc, v11, v1, vcc
	v_mov_b32_e32 v4, v8
	global_store_dwordx2 v[0:1], v[8:9], off
	v_mov_b32_e32 v5, v9
	buffer_wbl2
	s_waitcnt vmcnt(0)
	global_atomic_cmpswap_x2 v[4:5], v6, v[2:5], s[10:11] offset:24 glc
	s_waitcnt vmcnt(0)
	v_cmp_ne_u64_e32 vcc, v[4:5], v[8:9]
	s_and_b64 exec, exec, vcc
	s_cbranch_execz .LBB0_682
.LBB0_681:                              ; =>This Inner Loop Header: Depth=1
	s_sleep 1
	global_store_dwordx2 v[0:1], v[4:5], off
	buffer_wbl2
	s_waitcnt vmcnt(0)
	global_atomic_cmpswap_x2 v[8:9], v6, v[2:5], s[10:11] offset:24 glc
	s_waitcnt vmcnt(0)
	v_cmp_eq_u64_e32 vcc, v[8:9], v[4:5]
	s_or_b64 s[4:5], vcc, s[4:5]
	v_pk_mov_b32 v[4:5], v[8:9], v[8:9] op_sel:[0,1]
	s_andn2_b64 exec, exec, s[4:5]
	s_cbranch_execnz .LBB0_681
.LBB0_682:
	s_or_b64 exec, exec, s[14:15]
	s_waitcnt vmcnt(0)
	v_pk_mov_b32 v[0:1], v[12:13], v[12:13] op_sel:[0,1]
	v_cmp_ne_u64_e32 vcc, 0, v[0:1]
	s_and_saveexec_b64 s[4:5], vcc
	s_cbranch_execz .LBB0_686
; %bb.683:
	s_mov_b64 s[10:11], exec
	v_mbcnt_lo_u32_b32 v2, exec_lo, 0
	v_mbcnt_hi_u32_b32 v2, s11, v2
	v_cmp_eq_u32_e32 vcc, 0, v2
	s_and_b64 s[12:13], exec, vcc
	s_mov_b64 exec, s[12:13]
	s_cbranch_execz .LBB0_686
; %bb.684:
	s_mov_b64 s[12:13], exec
	v_mbcnt_lo_u32_b32 v2, s12, 0
	v_mbcnt_hi_u32_b32 v2, s13, v2
	v_cmp_eq_u32_e32 vcc, 0, v2
	s_and_b64 s[14:15], exec, vcc
	s_mov_b64 exec, s[14:15]
	s_cbranch_execz .LBB0_686
; %bb.685:
	s_load_dwordx2 s[8:9], s[8:9], 0x60
	s_bcnt1_i32_b64 s10, s[10:11]
	s_bcnt1_i32_b64 s11, s[12:13]
	s_mul_i32 s10, s10, s11
	v_mov_b32_e32 v4, s10
	v_mov_b32_e32 v5, 0
	;; [unrolled: 1-line block ×3, first 2 shown]
	s_waitcnt lgkmcnt(0)
	global_atomic_add_x2 v2, v[4:5], s[8:9] offset:2184
.LBB0_686:
	s_or_b64 exec, exec, s[4:5]
.LBB0_687:
	s_or_b64 exec, exec, s[6:7]
.LBB0_688:
	s_or_b64 exec, exec, s[24:25]
	buffer_load_dword v62, off, s[0:3], s32 ; 4-byte Folded Reload
	buffer_load_dword v61, off, s[0:3], s32 offset:4 ; 4-byte Folded Reload
	v_readlane_b32 s30, v63, 62
	v_readlane_b32 s31, v63, 63
	;; [unrolled: 1-line block ×64, first 2 shown]
	v_accvgpr_read_b32 v60, a31             ;  Reload Reuse
	v_accvgpr_read_b32 v59, a30             ;  Reload Reuse
	;; [unrolled: 1-line block ×13, first 2 shown]
	s_or_saveexec_b64 s[4:5], -1
	buffer_load_dword v63, off, s[0:3], s32 offset:8 ; 4-byte Folded Reload
	s_mov_b64 exec, s[4:5]
	s_waitcnt vmcnt(0) lgkmcnt(0)
	s_setpc_b64 s[30:31]
.Lfunc_end0:
	.size	__ockl_dm_alloc, .Lfunc_end0-__ockl_dm_alloc
                                        ; -- End function
	.section	.AMDGPU.csdata,"",@progbits
; Function info:
; codeLenInByte = 23172
; NumSgprs: 100
; NumVgprs: 64
; NumAgprs: 32
; TotalNumVgprs: 96
; ScratchSize: 16
; MemoryBound: 1
	.section	.text.unlikely.,"ax",@progbits
	.p2align	2                               ; -- Begin function __ockl_dm_dealloc
	.type	__ockl_dm_dealloc,@function
__ockl_dm_dealloc:                      ; @__ockl_dm_dealloc
; %bb.0:
	s_waitcnt vmcnt(0) expcnt(0) lgkmcnt(0)
	v_and_b32_e32 v2, 0xfff, v0
	v_mov_b32_e32 v3, 0
	v_cmp_ne_u64_e32 vcc, 0, v[2:3]
	s_and_saveexec_b64 s[4:5], vcc
	s_xor_b64 s[10:11], exec, s[4:5]
	s_cbranch_execz .LBB1_12
; %bb.1:
	v_and_b32_e32 v6, 0xffe00000, v0
	v_mov_b32_e32 v7, v1
	global_load_dwordx2 v[4:5], v[6:7], off
	s_load_dwordx2 s[4:5], s[8:9], 0x60
	s_movk_i32 s12, 0x100
	s_movk_i32 s13, 0x1800
	v_and_b32_e32 v7, 0x1fffff, v0
	v_or_b32_e32 v0, 16, v6
	s_waitcnt lgkmcnt(0)
	s_add_u32 s4, s4, 0x2800
	s_addc_u32 s5, s5, 0
	v_pk_mov_b32 v[8:9], s[4:5], s[4:5] op_sel:[0,1]
	s_getpc_b64 s[6:7]
	s_add_u32 s6, s6, __unnamed_1@rel32@lo+16
	s_addc_u32 s7, s7, __unnamed_1@rel32@hi+24
	v_mov_b32_e32 v14, s7
	s_waitcnt vmcnt(0)
	v_cmp_gt_u32_e64 s[4:5], s12, v5
	v_mad_u64_u32 v[10:11], s[12:13], v4, s13, v[8:9]
	v_lshrrev_b32_e32 v8, 1, v4
	v_add_u32_e32 v8, 4, v8
	v_lshlrev_b32_e64 v8, v8, 1
	v_bfe_i32 v9, v4, 0, 1
	v_lshrrev_b32_e32 v13, 1, v8
	v_and_b32_e32 v9, v9, v13
	v_add_u32_e32 v16, v9, v8
	v_cvt_f32_u32_e32 v13, v16
	v_mov_b32_e32 v2, v4
	v_add_u32_e32 v12, 0xffffff00, v5
	v_lshrrev_b32_e32 v15, 8, v12
	v_rcp_iflag_f32_e32 v17, v13
	v_lshlrev_b64 v[12:13], 5, v[2:3]
	v_add_co_u32_e32 v12, vcc, s6, v12
	v_mul_f32_e32 v2, 0x4f7ffffe, v17
	v_cvt_u32_f32_e32 v2, v2
	v_addc_co_u32_e32 v13, vcc, v13, v14, vcc
	v_sub_u32_e32 v14, 0, v16
	v_mul_lo_u32 v14, v14, v2
	v_mul_hi_u32 v14, v2, v14
	v_and_b32_e32 v6, 0xff, v5
	v_mad_u64_u32 v[8:9], s[12:13], v5, 24, v[10:11]
	v_mad_u64_u32 v[10:11], s[12:13], v15, 24, v[10:11]
	v_add_u32_e32 v2, v2, v14
	v_mov_b32_e32 v14, 1
.LBB1_2:                                ; =>This Inner Loop Header: Depth=1
	v_cmp_ne_u32_e32 vcc, 0, v14
	v_mov_b32_e32 v14, 0
	s_and_saveexec_b64 s[12:13], vcc
	s_cbranch_execz .LBB1_11
; %bb.3:                                ;   in Loop: Header=BB1_2 Depth=1
	v_readfirstlane_b32 s6, v4
	v_readfirstlane_b32 s7, v5
	v_cmp_eq_u32_e32 vcc, s6, v4
	v_cmp_eq_u32_e64 s[6:7], s7, v5
	s_and_b64 s[6:7], vcc, s[6:7]
	v_mov_b32_e32 v14, 1
	s_and_saveexec_b64 s[14:15], s[6:7]
	s_cbranch_execz .LBB1_10
; %bb.4:                                ;   in Loop: Header=BB1_2 Depth=1
	s_mov_b64 s[16:17], exec
	v_mbcnt_lo_u32_b32 v14, exec_lo, 0
	v_mbcnt_hi_u32_b32 v14, s17, v14
	v_cmp_ne_u32_e64 s[6:7], 0, v14
	s_or_b64 s[18:19], s[6:7], s[4:5]
	v_cmp_eq_u32_e32 vcc, 0, v14
	v_cndmask_b32_e64 v15, v9, 0, s[6:7]
	s_xor_b64 s[18:19], s[18:19], -1
	v_cndmask_b32_e64 v14, v8, 0, s[6:7]
	s_and_saveexec_b64 s[6:7], s[18:19]
	s_cbranch_execz .LBB1_6
; %bb.5:                                ;   in Loop: Header=BB1_2 Depth=1
	global_load_dwordx2 v[14:15], v[10:11], off glc
	s_waitcnt vmcnt(0)
	v_mad_u64_u32 v[14:15], s[18:19], v6, 24, v[14:15]
.LBB1_6:                                ;   in Loop: Header=BB1_2 Depth=1
	s_or_b64 exec, exec, s[6:7]
	global_load_dword v17, v[12:13], off
	v_readfirstlane_b32 s18, v14
	v_readfirstlane_b32 s19, v15
	s_waitcnt vmcnt(0)
	v_sub_u32_e32 v17, v7, v17
	v_mul_hi_u32 v18, v17, v2
	v_mul_lo_u32 v19, v18, v16
	v_sub_u32_e32 v17, v17, v19
	v_add_u32_e32 v20, 1, v18
	v_cmp_ge_u32_e64 s[6:7], v17, v16
	v_sub_u32_e32 v19, v17, v16
	v_cndmask_b32_e64 v18, v18, v20, s[6:7]
	v_cndmask_b32_e64 v17, v17, v19, s[6:7]
	v_add_u32_e32 v19, 1, v18
	v_cmp_ge_u32_e64 s[6:7], v17, v16
	v_cndmask_b32_e64 v17, v18, v19, s[6:7]
	v_lshlrev_b32_e64 v18, v17, 1
	v_lshrrev_b32_e32 v17, 3, v17
	v_and_b32_e32 v17, 0x1ffffffc, v17
	v_not_b32_e32 v20, v18
	v_add_co_u32_e64 v18, s[6:7], v0, v17
	v_addc_co_u32_e64 v19, s[6:7], 0, v1, s[6:7]
	global_atomic_and v[18:19], v20, off
	s_and_saveexec_b64 s[6:7], vcc
	s_cbranch_execz .LBB1_9
; %bb.7:                                ;   in Loop: Header=BB1_2 Depth=1
	s_mov_b64 s[20:21], exec
	v_mbcnt_lo_u32_b32 v14, s20, 0
	v_mbcnt_hi_u32_b32 v14, s21, v14
	v_cmp_eq_u32_e32 vcc, 0, v14
	s_and_b64 s[22:23], exec, vcc
	s_mov_b64 exec, s[22:23]
	s_cbranch_execz .LBB1_9
; %bb.8:                                ;   in Loop: Header=BB1_2 Depth=1
	s_bcnt1_i32_b64 s16, s[16:17]
	s_bcnt1_i32_b64 s17, s[20:21]
	s_mul_i32 s16, s16, s17
	v_mov_b32_e32 v14, s16
	global_atomic_sub v3, v14, s[18:19] offset:16
.LBB1_9:                                ;   in Loop: Header=BB1_2 Depth=1
	s_or_b64 exec, exec, s[6:7]
	v_mov_b32_e32 v14, 0
.LBB1_10:                               ;   in Loop: Header=BB1_2 Depth=1
	s_or_b64 exec, exec, s[14:15]
.LBB1_11:                               ;   in Loop: Header=BB1_2 Depth=1
	s_or_b64 exec, exec, s[12:13]
	v_mov_b32_e32 v15, v14
	;;#ASMSTART
	;;#ASMEND
	v_cmp_ne_u32_e32 vcc, 0, v15
	s_cbranch_vccnz .LBB1_2
.LBB1_12:
	s_andn2_saveexec_b64 s[6:7], s[10:11]
	s_cbranch_execz .LBB1_44
; %bb.13:
	v_cmp_ne_u64_e32 vcc, 0, v[0:1]
	s_and_saveexec_b64 s[10:11], vcc
	s_cbranch_execz .LBB1_43
; %bb.14:
	s_load_dwordx2 s[12:13], s[8:9], 0x50
	v_mbcnt_lo_u32_b32 v2, -1, 0
	v_mbcnt_hi_u32_b32 v3, -1, v2
	v_readfirstlane_b32 s4, v3
	v_cmp_eq_u32_e64 s[4:5], s4, v3
	v_pk_mov_b32 v[8:9], 0, 0
	s_and_saveexec_b64 s[14:15], s[4:5]
	s_cbranch_execz .LBB1_20
; %bb.15:
	v_mov_b32_e32 v2, 0
	s_waitcnt lgkmcnt(0)
	global_load_dwordx2 v[6:7], v2, s[12:13] offset:24 glc
	s_waitcnt vmcnt(0)
	buffer_invl2
	buffer_wbinvl1_vol
	global_load_dwordx2 v[4:5], v2, s[12:13] offset:40
	global_load_dwordx2 v[8:9], v2, s[12:13]
	s_waitcnt vmcnt(1)
	v_and_b32_e32 v4, v4, v6
	v_and_b32_e32 v5, v5, v7
	v_mul_lo_u32 v5, v5, 24
	v_mul_hi_u32 v10, v4, 24
	v_mul_lo_u32 v4, v4, 24
	v_add_u32_e32 v5, v10, v5
	s_waitcnt vmcnt(0)
	v_add_co_u32_e32 v4, vcc, v8, v4
	v_addc_co_u32_e32 v5, vcc, v9, v5, vcc
	global_load_dwordx2 v[4:5], v[4:5], off glc
	s_waitcnt vmcnt(0)
	global_atomic_cmpswap_x2 v[8:9], v2, v[4:7], s[12:13] offset:24 glc
	s_waitcnt vmcnt(0)
	buffer_invl2
	buffer_wbinvl1_vol
	v_cmp_ne_u64_e32 vcc, v[8:9], v[6:7]
	s_and_saveexec_b64 s[16:17], vcc
	s_cbranch_execz .LBB1_19
; %bb.16:
	s_mov_b64 s[18:19], 0
.LBB1_17:                               ; =>This Inner Loop Header: Depth=1
	s_sleep 1
	global_load_dwordx2 v[4:5], v2, s[12:13] offset:40
	global_load_dwordx2 v[10:11], v2, s[12:13]
	v_pk_mov_b32 v[6:7], v[8:9], v[8:9] op_sel:[0,1]
	s_waitcnt vmcnt(1)
	v_and_b32_e32 v4, v4, v6
	v_and_b32_e32 v9, v5, v7
	s_waitcnt vmcnt(0)
	v_mad_u64_u32 v[4:5], s[20:21], v4, 24, v[10:11]
	v_mov_b32_e32 v8, v5
	v_mad_u64_u32 v[8:9], s[20:21], v9, 24, v[8:9]
	v_mov_b32_e32 v5, v8
	global_load_dwordx2 v[4:5], v[4:5], off glc
	s_waitcnt vmcnt(0)
	global_atomic_cmpswap_x2 v[8:9], v2, v[4:7], s[12:13] offset:24 glc
	s_waitcnt vmcnt(0)
	buffer_invl2
	buffer_wbinvl1_vol
	v_cmp_eq_u64_e32 vcc, v[8:9], v[6:7]
	s_or_b64 s[18:19], vcc, s[18:19]
	s_andn2_b64 exec, exec, s[18:19]
	s_cbranch_execnz .LBB1_17
; %bb.18:
	s_or_b64 exec, exec, s[18:19]
.LBB1_19:
	s_or_b64 exec, exec, s[16:17]
.LBB1_20:
	s_or_b64 exec, exec, s[14:15]
	v_mov_b32_e32 v2, 0
	s_waitcnt lgkmcnt(0)
	global_load_dwordx2 v[10:11], v2, s[12:13] offset:40
	global_load_dwordx4 v[4:7], v2, s[12:13]
	v_readfirstlane_b32 s14, v8
	v_readfirstlane_b32 s15, v9
	s_mov_b64 s[16:17], exec
	s_waitcnt vmcnt(1)
	v_readfirstlane_b32 s18, v10
	v_readfirstlane_b32 s19, v11
	s_and_b64 s[18:19], s[14:15], s[18:19]
	s_mul_i32 s20, s19, 24
	s_mul_hi_u32 s21, s18, 24
	s_mul_i32 s22, s18, 24
	s_add_i32 s20, s21, s20
	v_mov_b32_e32 v9, s20
	s_waitcnt vmcnt(0)
	v_add_co_u32_e32 v8, vcc, s22, v4
	v_addc_co_u32_e32 v9, vcc, v5, v9, vcc
	s_and_saveexec_b64 s[20:21], s[4:5]
	s_cbranch_execz .LBB1_22
; %bb.21:
	v_pk_mov_b32 v[10:11], s[16:17], s[16:17] op_sel:[0,1]
	v_mov_b32_e32 v12, 3
	v_mov_b32_e32 v13, 1
	global_store_dwordx4 v[8:9], v[10:13], off offset:8
.LBB1_22:
	s_or_b64 exec, exec, s[20:21]
	s_lshl_b64 s[16:17], s[18:19], 12
	v_mov_b32_e32 v10, s17
	v_add_co_u32_e32 v6, vcc, s16, v6
	v_addc_co_u32_e32 v7, vcc, v7, v10, vcc
	s_mov_b32 s16, 0
	v_lshlrev_b32_e32 v10, 6, v3
	v_mov_b32_e32 v3, v2
	v_readfirstlane_b32 s20, v6
	v_readfirstlane_b32 s21, v7
	s_mov_b32 s17, s16
	s_mov_b32 s18, s16
	s_mov_b32 s19, s16
	s_nop 1
	global_store_dwordx4 v10, v[0:3], s[20:21]
	s_nop 0
	v_pk_mov_b32 v[0:1], s[16:17], s[16:17] op_sel:[0,1]
	v_pk_mov_b32 v[2:3], s[18:19], s[18:19] op_sel:[0,1]
	global_store_dwordx4 v10, v[0:3], s[20:21] offset:16
	global_store_dwordx4 v10, v[0:3], s[20:21] offset:32
	global_store_dwordx4 v10, v[0:3], s[20:21] offset:48
	s_and_saveexec_b64 s[16:17], s[4:5]
	s_cbranch_execz .LBB1_30
; %bb.23:
	v_mov_b32_e32 v6, 0
	global_load_dwordx2 v[12:13], v6, s[12:13] offset:32 glc
	global_load_dwordx2 v[0:1], v6, s[12:13] offset:40
	v_mov_b32_e32 v10, s14
	v_mov_b32_e32 v11, s15
	s_waitcnt vmcnt(0)
	v_and_b32_e32 v0, s14, v0
	v_and_b32_e32 v1, s15, v1
	v_mul_lo_u32 v1, v1, 24
	v_mul_hi_u32 v2, v0, 24
	v_mul_lo_u32 v0, v0, 24
	v_add_u32_e32 v1, v2, v1
	v_add_co_u32_e32 v4, vcc, v4, v0
	v_addc_co_u32_e32 v5, vcc, v5, v1, vcc
	global_store_dwordx2 v[4:5], v[12:13], off
	buffer_wbl2
	s_waitcnt vmcnt(0)
	global_atomic_cmpswap_x2 v[2:3], v6, v[10:13], s[12:13] offset:32 glc
	s_waitcnt vmcnt(0)
	v_cmp_ne_u64_e32 vcc, v[2:3], v[12:13]
	s_and_saveexec_b64 s[18:19], vcc
	s_cbranch_execz .LBB1_26
; %bb.24:
	s_mov_b64 s[20:21], 0
.LBB1_25:                               ; =>This Inner Loop Header: Depth=1
	s_sleep 1
	global_store_dwordx2 v[4:5], v[2:3], off
	v_mov_b32_e32 v0, s14
	v_mov_b32_e32 v1, s15
	buffer_wbl2
	s_waitcnt vmcnt(0)
	global_atomic_cmpswap_x2 v[0:1], v6, v[0:3], s[12:13] offset:32 glc
	s_waitcnt vmcnt(0)
	v_cmp_eq_u64_e32 vcc, v[0:1], v[2:3]
	s_or_b64 s[20:21], vcc, s[20:21]
	v_pk_mov_b32 v[2:3], v[0:1], v[0:1] op_sel:[0,1]
	s_andn2_b64 exec, exec, s[20:21]
	s_cbranch_execnz .LBB1_25
.LBB1_26:
	s_or_b64 exec, exec, s[18:19]
	v_mov_b32_e32 v3, 0
	global_load_dwordx2 v[0:1], v3, s[12:13] offset:16
	s_mov_b64 s[18:19], exec
	v_mbcnt_lo_u32_b32 v2, s18, 0
	v_mbcnt_hi_u32_b32 v2, s19, v2
	v_cmp_eq_u32_e32 vcc, 0, v2
	s_and_saveexec_b64 s[20:21], vcc
	s_cbranch_execz .LBB1_28
; %bb.27:
	s_bcnt1_i32_b64 s18, s[18:19]
	v_mov_b32_e32 v2, s18
	buffer_wbl2
	s_waitcnt vmcnt(0)
	global_atomic_add_x2 v[0:1], v[2:3], off offset:8
.LBB1_28:
	s_or_b64 exec, exec, s[20:21]
	s_waitcnt vmcnt(0)
	global_load_dwordx2 v[2:3], v[0:1], off offset:16
	s_waitcnt vmcnt(0)
	v_cmp_eq_u64_e32 vcc, 0, v[2:3]
	s_cbranch_vccnz .LBB1_30
; %bb.29:
	global_load_dword v0, v[0:1], off offset:24
	v_mov_b32_e32 v1, 0
	buffer_wbl2
	s_waitcnt vmcnt(0)
	global_store_dwordx2 v[2:3], v[0:1], off
	v_and_b32_e32 v0, 0xffffff, v0
	v_readfirstlane_b32 m0, v0
	s_sendmsg sendmsg(MSG_INTERRUPT)
.LBB1_30:
	s_or_b64 exec, exec, s[16:17]
.LBB1_31:                               ; =>This Inner Loop Header: Depth=1
	v_mov_b32_e32 v0, 1
	s_and_saveexec_b64 s[16:17], s[4:5]
	s_cbranch_execz .LBB1_33
; %bb.32:                               ;   in Loop: Header=BB1_31 Depth=1
	global_load_dword v0, v[8:9], off offset:20 glc
	s_waitcnt vmcnt(0)
	buffer_invl2
	buffer_wbinvl1_vol
	v_and_b32_e32 v0, 1, v0
.LBB1_33:                               ;   in Loop: Header=BB1_31 Depth=1
	s_or_b64 exec, exec, s[16:17]
	v_readfirstlane_b32 s16, v0
	s_cmp_eq_u32 s16, 0
	s_cbranch_scc1 .LBB1_35
; %bb.34:                               ;   in Loop: Header=BB1_31 Depth=1
	s_mov_b64 s[16:17], 0
	s_sleep 1
	s_branch .LBB1_36
.LBB1_35:                               ;   in Loop: Header=BB1_31 Depth=1
	s_mov_b64 s[16:17], -1
.LBB1_36:                               ;   in Loop: Header=BB1_31 Depth=1
	s_andn2_b64 vcc, exec, s[16:17]
	s_cbranch_vccnz .LBB1_31
; %bb.37:
	s_and_saveexec_b64 s[16:17], s[4:5]
	s_cbranch_execz .LBB1_40
; %bb.38:
	v_mov_b32_e32 v6, 0
	global_load_dwordx2 v[4:5], v6, s[12:13] offset:40
	global_load_dwordx2 v[8:9], v6, s[12:13] offset:24 glc
	global_load_dwordx2 v[10:11], v6, s[12:13]
	v_mov_b32_e32 v1, s15
	s_mov_b64 s[4:5], 0
	s_waitcnt vmcnt(2)
	v_add_co_u32_e32 v3, vcc, 1, v4
	v_addc_co_u32_e32 v7, vcc, 0, v5, vcc
	v_add_co_u32_e32 v0, vcc, s14, v3
	v_addc_co_u32_e32 v1, vcc, v7, v1, vcc
	v_cmp_eq_u64_e32 vcc, 0, v[0:1]
	v_cndmask_b32_e32 v1, v1, v7, vcc
	v_cndmask_b32_e32 v0, v0, v3, vcc
	v_and_b32_e32 v3, v1, v5
	v_and_b32_e32 v4, v0, v4
	v_mul_lo_u32 v3, v3, 24
	v_mul_hi_u32 v5, v4, 24
	v_mul_lo_u32 v4, v4, 24
	v_add_u32_e32 v3, v5, v3
	s_waitcnt vmcnt(0)
	v_add_co_u32_e32 v4, vcc, v10, v4
	v_addc_co_u32_e32 v5, vcc, v11, v3, vcc
	v_mov_b32_e32 v2, v8
	global_store_dwordx2 v[4:5], v[8:9], off
	v_mov_b32_e32 v3, v9
	buffer_wbl2
	s_waitcnt vmcnt(0)
	global_atomic_cmpswap_x2 v[2:3], v6, v[0:3], s[12:13] offset:24 glc
	s_waitcnt vmcnt(0)
	v_cmp_ne_u64_e32 vcc, v[2:3], v[8:9]
	s_and_b64 exec, exec, vcc
	s_cbranch_execz .LBB1_40
.LBB1_39:                               ; =>This Inner Loop Header: Depth=1
	s_sleep 1
	global_store_dwordx2 v[4:5], v[2:3], off
	buffer_wbl2
	s_waitcnt vmcnt(0)
	global_atomic_cmpswap_x2 v[8:9], v6, v[0:3], s[12:13] offset:24 glc
	s_waitcnt vmcnt(0)
	v_cmp_eq_u64_e32 vcc, v[8:9], v[2:3]
	s_or_b64 s[4:5], vcc, s[4:5]
	v_pk_mov_b32 v[2:3], v[8:9], v[8:9] op_sel:[0,1]
	s_andn2_b64 exec, exec, s[4:5]
	s_cbranch_execnz .LBB1_39
.LBB1_40:
	s_or_b64 exec, exec, s[16:17]
	s_mov_b64 s[4:5], exec
	v_mbcnt_lo_u32_b32 v0, exec_lo, 0
	v_mbcnt_hi_u32_b32 v0, s5, v0
	v_cmp_eq_u32_e32 vcc, 0, v0
	s_and_b64 s[12:13], exec, vcc
	s_mov_b64 exec, s[12:13]
	s_cbranch_execz .LBB1_43
; %bb.41:
	s_mov_b64 s[12:13], exec
	v_mbcnt_lo_u32_b32 v0, s12, 0
	v_mbcnt_hi_u32_b32 v0, s13, v0
	v_cmp_eq_u32_e32 vcc, 0, v0
	s_and_b64 s[14:15], exec, vcc
	s_mov_b64 exec, s[14:15]
	s_cbranch_execz .LBB1_43
; %bb.42:
	s_bcnt1_i32_b64 s14, s[4:5]
	s_load_dwordx2 s[4:5], s[8:9], 0x60
	s_bcnt1_i32_b64 s8, s[12:13]
	s_mul_i32 s14, s14, s8
	v_mov_b32_e32 v0, s14
	v_mov_b32_e32 v1, 0
	;; [unrolled: 1-line block ×3, first 2 shown]
	s_waitcnt lgkmcnt(0)
	global_atomic_sub_x2 v2, v[0:1], s[4:5] offset:2184
.LBB1_43:
	s_or_b64 exec, exec, s[10:11]
.LBB1_44:
	s_or_b64 exec, exec, s[6:7]
	s_waitcnt vmcnt(0) lgkmcnt(0)
	s_setpc_b64 s[30:31]
.Lfunc_end1:
	.size	__ockl_dm_dealloc, .Lfunc_end1-__ockl_dm_dealloc
                                        ; -- End function
	.section	.AMDGPU.csdata,"",@progbits
; Function info:
; codeLenInByte = 2076
; NumSgprs: 36
; NumVgprs: 21
; NumAgprs: 0
; TotalNumVgprs: 21
; ScratchSize: 0
; MemoryBound: 0
	.text
	.protected	_Z24kernel_memory_allocationv ; -- Begin function _Z24kernel_memory_allocationv
	.globl	_Z24kernel_memory_allocationv
	.p2align	8
	.type	_Z24kernel_memory_allocationv,@function
_Z24kernel_memory_allocationv:          ; @_Z24kernel_memory_allocationv
; %bb.0:
	s_add_u32 flat_scratch_lo, s6, s9
	s_load_dword s6, s[4:5], 0xc
	s_addc_u32 flat_scratch_hi, s7, 0
	s_add_u32 s0, s0, s9
	s_addc_u32 s1, s1, 0
	v_cmp_eq_u32_e64 s[96:97], 0, v0
	s_waitcnt lgkmcnt(0)
	s_and_b32 s33, s6, 0xffff
	s_mov_b32 s32, 0
	s_and_saveexec_b64 s[98:99], s[96:97]
	s_cbranch_execnz .LBB2_11
.LBB2_1:
	s_or_b64 exec, exec, s[98:99]
	v_mov_b32_e32 v5, 0
	s_waitcnt lgkmcnt(0)
	s_barrier
	ds_read_b64 v[2:3], v5
	s_mov_b64 s[6:7], -1
	s_cmp_eq_u32 s33, 1
	v_lshlrev_b32_e32 v1, 2, v0
	s_cbranch_scc1 .LBB2_5
; %bb.2:
	s_mov_b32 s21, 0
	s_waitcnt lgkmcnt(0)
	v_add_co_u32_e32 v6, vcc, v2, v1
	s_lshl_b32 s6, s33, 4
	s_lshl_b32 s7, s33, 1
	s_mul_i32 s8, s33, 3
	s_lshl_b32 s9, s33, 2
	s_mul_i32 s10, s33, 5
	s_mul_i32 s11, s33, 6
	;; [unrolled: 1-line block ×3, first 2 shown]
	s_lshl_b32 s13, s33, 3
	s_mul_i32 s14, s33, 9
	s_mul_i32 s15, s33, 10
	;; [unrolled: 1-line block ×7, first 2 shown]
	v_addc_co_u32_e32 v7, vcc, 0, v3, vcc
	s_lshl_b32 s22, s33, 6
	v_mov_b32_e32 v8, s21
.LBB2_3:                                ; =>This Inner Loop Header: Depth=1
	v_mov_b32_e32 v9, s21
	v_add_u32_e32 v4, s33, v0
	flat_store_dword v[6:7], v9
	v_add_co_u32_e32 v6, vcc, s22, v6
	v_lshlrev_b64 v[10:11], 2, v[4:5]
	v_addc_co_u32_e32 v7, vcc, v7, v8, vcc
	s_add_i32 s23, s21, 1
	v_add_u32_e32 v4, s7, v0
	v_add_co_u32_e32 v10, vcc, v2, v10
	v_mov_b32_e32 v9, s23
	v_addc_co_u32_e32 v11, vcc, v3, v11, vcc
	v_lshlrev_b64 v[12:13], 2, v[4:5]
	s_add_i32 s24, s21, 2
	v_add_u32_e32 v4, s8, v0
	flat_store_dword v[10:11], v9
	v_add_co_u32_e32 v10, vcc, v2, v12
	v_mov_b32_e32 v14, s24
	v_addc_co_u32_e32 v11, vcc, v3, v13, vcc
	v_lshlrev_b64 v[12:13], 2, v[4:5]
	s_add_i32 s25, s21, 3
	v_add_u32_e32 v4, s9, v0
	flat_store_dword v[10:11], v14
	;; [unrolled: 7-line block ×13, first 2 shown]
	v_add_co_u32_e32 v10, vcc, v2, v12
	v_mov_b32_e32 v26, s38
	v_addc_co_u32_e32 v11, vcc, v3, v13, vcc
	v_lshlrev_b64 v[12:13], 2, v[4:5]
	s_add_i32 s39, s21, 15
	s_add_i32 s21, s21, 16
	flat_store_dword v[10:11], v26
	v_add_co_u32_e32 v10, vcc, v2, v12
	v_mov_b32_e32 v27, s39
	s_cmpk_eq_i32 s21, 0x400
	v_add_u32_e32 v0, s6, v0
	v_addc_co_u32_e32 v11, vcc, v3, v13, vcc
	flat_store_dword v[10:11], v27
	s_cbranch_scc0 .LBB2_3
; %bb.4:
	s_mov_b64 s[6:7], 0
.LBB2_5:
	s_and_b64 vcc, exec, s[6:7]
	s_cbranch_vccz .LBB2_8
; %bb.6:
	s_waitcnt lgkmcnt(0)
	v_add_co_u32_e32 v4, vcc, v2, v1
	v_addc_co_u32_e32 v5, vcc, 0, v3, vcc
	s_mov_b32 s8, 1
	s_mov_b32 s9, 0
	s_mov_b64 s[6:7], 0
.LBB2_7:                                ; =>This Inner Loop Header: Depth=1
	s_add_i32 s10, s8, 2
	s_add_i32 s11, s9, 2
	v_mov_b32_e32 v0, s9
	v_mov_b32_e32 v1, s8
	s_add_i32 s12, s8, 4
	s_add_i32 s13, s9, 4
	;; [unrolled: 1-line block ×30, first 2 shown]
	v_add_co_u32_e32 v34, vcc, s6, v4
	s_add_u32 s6, s6, 0x80
	v_mov_b32_e32 v2, s7
	s_addc_u32 s7, s7, 0
	v_addc_co_u32_e32 v35, vcc, v5, v2, vcc
	v_mov_b32_e32 v2, s11
	v_mov_b32_e32 v3, s10
	;; [unrolled: 1-line block ×6, first 2 shown]
	s_cmpk_eq_i32 s6, 0x1000
	v_mov_b32_e32 v6, s13
	v_mov_b32_e32 v7, s12
	;; [unrolled: 1-line block ×24, first 2 shown]
	flat_store_dwordx4 v[34:35], v[0:3]
	flat_store_dwordx4 v[34:35], v[6:9] offset:16
	flat_store_dwordx4 v[34:35], v[10:13] offset:32
	;; [unrolled: 1-line block ×7, first 2 shown]
	s_cbranch_scc0 .LBB2_7
.LBB2_8:
	s_waitcnt lgkmcnt(0)
	s_barrier
	s_and_saveexec_b64 s[6:7], s[96:97]
	s_cbranch_execz .LBB2_10
; %bb.9:
	v_mov_b32_e32 v0, 0
	ds_read_b64 v[0:1], v0
	s_waitcnt lgkmcnt(0)
	v_cmp_eq_u64_e32 vcc, 0, v[0:1]
	s_cbranch_vccz .LBB2_12
.LBB2_10:
	s_endpgm
.LBB2_11:
	s_lshl_b32 s6, s33, 12
	s_max_u32 s10, s6, 1
                                        ; implicit-def: $vgpr42 : SGPR spill to VGPR lane
	s_mov_b64 s[8:9], s[4:5]
	v_mov_b32_e32 v40, v0
	v_mov_b32_e32 v0, s10
	;; [unrolled: 1-line block ×3, first 2 shown]
	v_writelane_b32 v42, s4, 0
	s_getpc_b64 s[6:7]
	s_add_u32 s6, s6, __ockl_dm_alloc@rel32@lo+4
	s_addc_u32 s7, s7, __ockl_dm_alloc@rel32@hi+12
	v_mov_b32_e32 v41, 0
	v_writelane_b32 v42, s5, 1
	s_swappc_b64 s[30:31], s[6:7]
	v_readlane_b32 s4, v42, 0
	v_readlane_b32 s5, v42, 1
	v_mov_b32_e32 v2, v0
	v_mov_b32_e32 v0, v40
	;; [unrolled: 1-line block ×3, first 2 shown]
	ds_write_b64 v41, v[2:3]
	s_branch .LBB2_1
.LBB2_12:
	s_mov_b64 s[8:9], s[4:5]
	s_getpc_b64 s[6:7]
	s_add_u32 s6, s6, __ockl_dm_dealloc@rel32@lo+4
	s_addc_u32 s7, s7, __ockl_dm_dealloc@rel32@hi+12
	s_swappc_b64 s[30:31], s[6:7]
	s_endpgm
	.section	.rodata,"a",@progbits
	.p2align	6, 0x0
	.amdhsa_kernel _Z24kernel_memory_allocationv
		.amdhsa_group_segment_fixed_size 8
		.amdhsa_private_segment_fixed_size 16
		.amdhsa_kernarg_size 256
		.amdhsa_user_sgpr_count 8
		.amdhsa_user_sgpr_private_segment_buffer 1
		.amdhsa_user_sgpr_dispatch_ptr 0
		.amdhsa_user_sgpr_queue_ptr 0
		.amdhsa_user_sgpr_kernarg_segment_ptr 1
		.amdhsa_user_sgpr_dispatch_id 0
		.amdhsa_user_sgpr_flat_scratch_init 1
		.amdhsa_user_sgpr_kernarg_preload_length 0
		.amdhsa_user_sgpr_kernarg_preload_offset 0
		.amdhsa_user_sgpr_private_segment_size 0
		.amdhsa_uses_dynamic_stack 0
		.amdhsa_system_sgpr_private_segment_wavefront_offset 1
		.amdhsa_system_sgpr_workgroup_id_x 1
		.amdhsa_system_sgpr_workgroup_id_y 0
		.amdhsa_system_sgpr_workgroup_id_z 0
		.amdhsa_system_sgpr_workgroup_info 0
		.amdhsa_system_vgpr_workitem_id 0
		.amdhsa_next_free_vgpr 96
		.amdhsa_next_free_sgpr 100
		.amdhsa_accum_offset 64
		.amdhsa_reserve_vcc 1
		.amdhsa_reserve_flat_scratch 1
		.amdhsa_float_round_mode_32 0
		.amdhsa_float_round_mode_16_64 0
		.amdhsa_float_denorm_mode_32 3
		.amdhsa_float_denorm_mode_16_64 3
		.amdhsa_dx10_clamp 1
		.amdhsa_ieee_mode 1
		.amdhsa_fp16_overflow 0
		.amdhsa_tg_split 0
		.amdhsa_exception_fp_ieee_invalid_op 0
		.amdhsa_exception_fp_denorm_src 0
		.amdhsa_exception_fp_ieee_div_zero 0
		.amdhsa_exception_fp_ieee_overflow 0
		.amdhsa_exception_fp_ieee_underflow 0
		.amdhsa_exception_fp_ieee_inexact 0
		.amdhsa_exception_int_div_zero 0
	.end_amdhsa_kernel
	.text
.Lfunc_end2:
	.size	_Z24kernel_memory_allocationv, .Lfunc_end2-_Z24kernel_memory_allocationv
                                        ; -- End function
	.section	.AMDGPU.csdata,"",@progbits
; Kernel info:
; codeLenInByte = 1328
; NumSgprs: 106
; NumVgprs: 64
; NumAgprs: 32
; TotalNumVgprs: 96
; ScratchSize: 16
; MemoryBound: 0
; FloatMode: 240
; IeeeMode: 1
; LDSByteSize: 8 bytes/workgroup (compile time only)
; SGPRBlocks: 13
; VGPRBlocks: 11
; NumSGPRsForWavesPerEU: 106
; NumVGPRsForWavesPerEU: 96
; AccumOffset: 64
; Occupancy: 5
; WaveLimiterHint : 1
; COMPUTE_PGM_RSRC2:SCRATCH_EN: 1
; COMPUTE_PGM_RSRC2:USER_SGPR: 8
; COMPUTE_PGM_RSRC2:TRAP_HANDLER: 0
; COMPUTE_PGM_RSRC2:TGID_X_EN: 1
; COMPUTE_PGM_RSRC2:TGID_Y_EN: 0
; COMPUTE_PGM_RSRC2:TGID_Z_EN: 0
; COMPUTE_PGM_RSRC2:TIDIG_COMP_CNT: 0
; COMPUTE_PGM_RSRC3_GFX90A:ACCUM_OFFSET: 15
; COMPUTE_PGM_RSRC3_GFX90A:TG_SPLIT: 0
	.text
	.p2alignl 6, 3212836864
	.fill 256, 4, 3212836864
	.type	__hip_cuid_4365218c4bcdaa1c,@object ; @__hip_cuid_4365218c4bcdaa1c
	.section	.bss,"aw",@nobits
	.globl	__hip_cuid_4365218c4bcdaa1c
__hip_cuid_4365218c4bcdaa1c:
	.byte	0                               ; 0x0
	.size	__hip_cuid_4365218c4bcdaa1c, 1

	.type	__unnamed_1,@object             ; @0
	.section	.rodata,"a",@progbits
	.p2align	2, 0x0
__unnamed_1:
	.long	130054                          ; 0x1fc06
	.long	129546                          ; 0x1fa0a
	;; [unrolled: 1-line block ×3, first 2 shown]
	.long	16288                           ; 0x3fa0
	.long	6                               ; 0x6
	.long	256                             ; 0x100
	.long	0                               ; 0x0
	.long	4195                            ; 0x1063
	.long	86927                           ; 0x1538f
	.long	86758                           ; 0x152e6
	;; [unrolled: 1-line block ×4, first 2 shown]
	.long	399                             ; 0x18f
	.long	512                             ; 0x200
	.long	0                               ; 0x0
	.long	2804                            ; 0xaf4
	.long	65280                           ; 0xff00
	.long	64770                           ; 0xfd02
	;; [unrolled: 1-line block ×3, first 2 shown]
	.long	8192                            ; 0x2000
	.long	0                               ; 0x0
	.long	128                             ; 0x80
	.long	0                               ; 0x0
	.long	2107                            ; 0x83b
	.long	43576                           ; 0xaa38
	.long	43406                           ; 0xa98e
	;; [unrolled: 1-line block ×3, first 2 shown]
	.long	5504                            ; 0x1580
	.long	56                              ; 0x38
	.long	256                             ; 0x100
	.long	0                               ; 0x0
	.long	1405                            ; 0x57d
	.long	32703                           ; 0x7fbf
	.long	32193                           ; 0x7dc1
	;; [unrolled: 1-line block ×3, first 2 shown]
	.long	4160                            ; 0x1040
	.long	63                              ; 0x3f
	.long	64                              ; 0x40
	.long	0                               ; 0x0
	.long	1054                            ; 0x41e
	.long	21816                           ; 0x5538
	.long	21646                           ; 0x548e
	;; [unrolled: 1-line block ×3, first 2 shown]
	.long	2816                            ; 0xb00
	.long	56                              ; 0x38
	.long	128                             ; 0x80
	.long	0                               ; 0x0
	.long	703                             ; 0x2bf
	.long	16367                           ; 0x3fef
	.long	15856                           ; 0x3df0
	;; [unrolled: 1-line block ×3, first 2 shown]
	.long	2176                            ; 0x880
	.long	15                              ; 0xf
	.long	32                              ; 0x20
	.long	32768                           ; 0x8000
	.long	527                             ; 0x20f
	.long	10915                           ; 0x2aa3
	.long	10745                           ; 0x29f9
	.long	9133                            ; 0x23ad
	.long	1472                            ; 0x5c0
	.long	35                              ; 0x23
	.long	64                              ; 0x40
	.long	0                               ; 0x0
	.long	352                             ; 0x160
	.long	8187                            ; 0x1ffb
	.long	7676                            ; 0x1dfc
	;; [unrolled: 1-line block ×4, first 2 shown]
	.long	11                              ; 0xb
	.long	16                              ; 0x10
	.long	134219776                       ; 0x8000800
	.long	265                             ; 0x109
	.long	5459                            ; 0x1553
	.long	5289                            ; 0x14a9
	;; [unrolled: 1-line block ×3, first 2 shown]
	.long	896                             ; 0x380
	.long	19                              ; 0x13
	.long	32                              ; 0x20
	.long	524288                          ; 0x80000
	.long	176                             ; 0xb0
	.long	4094                            ; 0xffe
	.long	3583                            ; 0xdff
	.long	3045                            ; 0xbe5
	.long	1024                            ; 0x400
	.long	6                               ; 0x6
	.long	8                               ; 0x8
	.long	1077952576                      ; 0x40404040
	.long	133                             ; 0x85
	.long	2730                            ; 0xaaa
	.long	2560                            ; 0xa00
	;; [unrolled: 1-line block ×3, first 2 shown]
	.long	512                             ; 0x200
	.long	10                              ; 0xa
	.long	16                              ; 0x10
	.long	67109888                        ; 0x4000400
	.long	89                              ; 0x59
	.long	2047                            ; 0x7ff
	.long	1536                            ; 0x600
	;; [unrolled: 1-line block ×4, first 2 shown]
	.long	3                               ; 0x3
	.long	4                               ; 0x4
	.long	2290649224                      ; 0x88888888
	.long	66                              ; 0x42
	.long	1365                            ; 0x555
	.long	1195                            ; 0x4ab
	;; [unrolled: 1-line block ×3, first 2 shown]
	.long	512                             ; 0x200
	.long	5                               ; 0x5
	.long	8                               ; 0x8
	.long	538976288                       ; 0x20202020
	.long	44                              ; 0x2c
	.long	1023                            ; 0x3ff
	.long	512                             ; 0x200
	.long	435                             ; 0x1b3
	.long	2048                            ; 0x800
	.long	1                               ; 0x1
	.long	2                               ; 0x2
	.long	2863311530                      ; 0xaaaaaaaa
	.long	34                              ; 0x22
	.long	682                             ; 0x2aa
	.long	512                             ; 0x200
	;; [unrolled: 1-line block ×3, first 2 shown]
	.long	2048                            ; 0x800
	.long	2                               ; 0x2
	.long	4                               ; 0x4
	.long	1145324612                      ; 0x44444444
	.long	35                              ; 0x23
	.size	__unnamed_1, 512

	.ident	"AMD clang version 19.0.0git (https://github.com/RadeonOpenCompute/llvm-project roc-6.4.0 25133 c7fe45cf4b819c5991fe208aaa96edf142730f1d)"
	.section	".note.GNU-stack","",@progbits
	.addrsig
	.addrsig_sym __hip_cuid_4365218c4bcdaa1c
	.amdgpu_metadata
---
amdhsa.kernels:
  - .agpr_count:     32
    .args:
      - .offset:         0
        .size:           4
        .value_kind:     hidden_block_count_x
      - .offset:         4
        .size:           4
        .value_kind:     hidden_block_count_y
      - .offset:         8
        .size:           4
        .value_kind:     hidden_block_count_z
      - .offset:         12
        .size:           2
        .value_kind:     hidden_group_size_x
      - .offset:         14
        .size:           2
        .value_kind:     hidden_group_size_y
      - .offset:         16
        .size:           2
        .value_kind:     hidden_group_size_z
      - .offset:         18
        .size:           2
        .value_kind:     hidden_remainder_x
      - .offset:         20
        .size:           2
        .value_kind:     hidden_remainder_y
      - .offset:         22
        .size:           2
        .value_kind:     hidden_remainder_z
      - .offset:         40
        .size:           8
        .value_kind:     hidden_global_offset_x
      - .offset:         48
        .size:           8
        .value_kind:     hidden_global_offset_y
      - .offset:         56
        .size:           8
        .value_kind:     hidden_global_offset_z
      - .offset:         64
        .size:           2
        .value_kind:     hidden_grid_dims
      - .offset:         80
        .size:           8
        .value_kind:     hidden_hostcall_buffer
      - .offset:         96
        .size:           8
        .value_kind:     hidden_heap_v1
    .group_segment_fixed_size: 8
    .kernarg_segment_align: 8
    .kernarg_segment_size: 256
    .language:       OpenCL C
    .language_version:
      - 2
      - 0
    .max_flat_workgroup_size: 1024
    .name:           _Z24kernel_memory_allocationv
    .private_segment_fixed_size: 16
    .sgpr_count:     106
    .sgpr_spill_count: 2
    .symbol:         _Z24kernel_memory_allocationv.kd
    .uniform_work_group_size: 1
    .uses_dynamic_stack: false
    .vgpr_count:     96
    .vgpr_spill_count: 0
    .wavefront_size: 64
amdhsa.target:   amdgcn-amd-amdhsa--gfx90a
amdhsa.version:
  - 1
  - 2
...

	.end_amdgpu_metadata
